;; amdgpu-corpus repo=ROCm/rocFFT kind=compiled arch=gfx1201 opt=O3
	.text
	.amdgcn_target "amdgcn-amd-amdhsa--gfx1201"
	.amdhsa_code_object_version 6
	.protected	bluestein_single_back_len884_dim1_half_op_CI_CI ; -- Begin function bluestein_single_back_len884_dim1_half_op_CI_CI
	.globl	bluestein_single_back_len884_dim1_half_op_CI_CI
	.p2align	8
	.type	bluestein_single_back_len884_dim1_half_op_CI_CI,@function
bluestein_single_back_len884_dim1_half_op_CI_CI: ; @bluestein_single_back_len884_dim1_half_op_CI_CI
; %bb.0:
	s_load_b128 s[16:19], s[0:1], 0x28
	v_mul_u32_u24_e32 v1, 0x3c4, v0
	s_mov_b32 s2, exec_lo
	s_delay_alu instid0(VALU_DEP_1) | instskip(NEXT) | instid1(VALU_DEP_1)
	v_lshrrev_b32_e32 v1, 16, v1
	v_mad_co_u64_u32 v[28:29], null, ttmp9, 3, v[1:2]
	v_mov_b32_e32 v29, 0
                                        ; kill: def $vgpr2 killed $sgpr0 killed $exec
	s_wait_kmcnt 0x0
	s_delay_alu instid0(VALU_DEP_1)
	v_cmpx_gt_u64_e64 s[16:17], v[28:29]
	s_cbranch_execz .LBB0_18
; %bb.1:
	s_clause 0x1
	s_load_b128 s[4:7], s[0:1], 0x18
	s_load_b128 s[8:11], s[0:1], 0x0
	v_mul_lo_u16 v1, 0x44, v1
	s_delay_alu instid0(VALU_DEP_1) | instskip(NEXT) | instid1(VALU_DEP_1)
	v_sub_nc_u16 v12, v0, v1
	v_and_b32_e32 v67, 0xffff, v12
	s_delay_alu instid0(VALU_DEP_1)
	v_lshlrev_b32_e32 v76, 2, v67
	s_wait_kmcnt 0x0
	s_load_b128 s[12:15], s[4:5], 0x0
	s_clause 0x7
	global_load_b32 v70, v76, s[8:9]
	global_load_b32 v71, v76, s[8:9] offset:272
	global_load_b32 v69, v76, s[8:9] offset:544
	;; [unrolled: 1-line block ×7, first 2 shown]
	s_wait_kmcnt 0x0
	v_mad_co_u64_u32 v[0:1], null, s14, v28, 0
	v_mad_co_u64_u32 v[2:3], null, s12, v67, 0
	s_mul_u64 s[2:3], s[12:13], 0x110
	s_delay_alu instid0(VALU_DEP_1) | instskip(NEXT) | instid1(VALU_DEP_1)
	v_mad_co_u64_u32 v[4:5], null, s15, v28, v[1:2]
	v_mad_co_u64_u32 v[5:6], null, s13, v67, v[3:4]
	v_mov_b32_e32 v1, v4
	s_delay_alu instid0(VALU_DEP_1) | instskip(NEXT) | instid1(VALU_DEP_3)
	v_lshlrev_b64_e32 v[0:1], 2, v[0:1]
	v_mov_b32_e32 v3, v5
	s_delay_alu instid0(VALU_DEP_2) | instskip(NEXT) | instid1(VALU_DEP_2)
	v_add_co_u32 v0, vcc_lo, s18, v0
	v_lshlrev_b64_e32 v[2:3], 2, v[2:3]
	s_delay_alu instid0(VALU_DEP_4) | instskip(NEXT) | instid1(VALU_DEP_2)
	v_add_co_ci_u32_e32 v1, vcc_lo, s19, v1, vcc_lo
	v_add_co_u32 v0, vcc_lo, v0, v2
	s_wait_alu 0xfffd
	s_delay_alu instid0(VALU_DEP_2)
	v_add_co_ci_u32_e32 v1, vcc_lo, v1, v3, vcc_lo
	global_load_b32 v4, v[0:1], off
	v_add_co_u32 v0, vcc_lo, v0, s2
	s_wait_alu 0xfffd
	v_add_co_ci_u32_e32 v1, vcc_lo, s3, v1, vcc_lo
	s_clause 0x4
	global_load_b32 v56, v76, s[8:9] offset:2176
	global_load_b32 v54, v76, s[8:9] offset:2448
	;; [unrolled: 1-line block ×5, first 2 shown]
	v_add_co_u32 v2, vcc_lo, v0, s2
	s_wait_alu 0xfffd
	v_add_co_ci_u32_e32 v3, vcc_lo, s3, v1, vcc_lo
	global_load_b32 v5, v[0:1], off
	v_add_co_u32 v0, vcc_lo, v2, s2
	s_wait_alu 0xfffd
	v_add_co_ci_u32_e32 v1, vcc_lo, s3, v3, vcc_lo
	s_clause 0x1
	global_load_b32 v7, v[2:3], off
	global_load_b32 v9, v[0:1], off
	v_add_co_u32 v0, vcc_lo, v0, s2
	s_wait_alu 0xfffd
	v_add_co_ci_u32_e32 v1, vcc_lo, s3, v1, vcc_lo
	s_delay_alu instid0(VALU_DEP_2) | instskip(SKIP_1) | instid1(VALU_DEP_2)
	v_add_co_u32 v2, vcc_lo, v0, s2
	s_wait_alu 0xfffd
	v_add_co_ci_u32_e32 v3, vcc_lo, s3, v1, vcc_lo
	global_load_b32 v10, v[0:1], off
	v_add_co_u32 v0, vcc_lo, v2, s2
	s_wait_alu 0xfffd
	v_add_co_ci_u32_e32 v1, vcc_lo, s3, v3, vcc_lo
	global_load_b32 v11, v[2:3], off
	global_load_b32 v13, v[0:1], off
	v_add_co_u32 v0, vcc_lo, v0, s2
	s_wait_alu 0xfffd
	v_add_co_ci_u32_e32 v1, vcc_lo, s3, v1, vcc_lo
	s_delay_alu instid0(VALU_DEP_2) | instskip(SKIP_1) | instid1(VALU_DEP_2)
	v_add_co_u32 v2, vcc_lo, v0, s2
	s_wait_alu 0xfffd
	v_add_co_ci_u32_e32 v3, vcc_lo, s3, v1, vcc_lo
	global_load_b32 v14, v[0:1], off
	v_add_co_u32 v0, vcc_lo, v2, s2
	s_wait_alu 0xfffd
	v_add_co_ci_u32_e32 v1, vcc_lo, s3, v3, vcc_lo
	global_load_b32 v15, v[2:3], off
	;; [unrolled: 4-line block ×5, first 2 shown]
	global_load_b32 v1, v[2:3], off
	v_mul_hi_u32 v2, 0xaaaaaaab, v28
	s_load_b128 s[4:7], s[6:7], 0x0
	s_load_b64 s[2:3], s[0:1], 0x38
	v_cmp_gt_u16_e32 vcc_lo, 17, v12
	s_delay_alu instid0(VALU_DEP_2) | instskip(NEXT) | instid1(VALU_DEP_1)
	v_lshrrev_b32_e32 v2, 1, v2
	v_lshl_add_u32 v2, v2, 1, v2
	s_delay_alu instid0(VALU_DEP_1) | instskip(NEXT) | instid1(VALU_DEP_1)
	v_sub_nc_u32_e32 v2, v28, v2
	v_mul_u32_u24_e32 v2, 0x374, v2
	s_delay_alu instid0(VALU_DEP_1) | instskip(NEXT) | instid1(VALU_DEP_1)
	v_lshlrev_b32_e32 v75, 2, v2
	v_add_nc_u32_e32 v52, v76, v75
	s_delay_alu instid0(VALU_DEP_1)
	v_add_nc_u32_e32 v8, 0x400, v52
	v_add_nc_u32_e32 v6, 0x800, v52
	s_wait_loadcnt 0x19
	v_lshrrev_b32_e32 v18, 16, v70
	s_wait_loadcnt 0x18
	v_lshrrev_b32_e32 v33, 16, v71
	;; [unrolled: 2-line block ×9, first 2 shown]
	v_mul_f16_e32 v3, v18, v4
	s_wait_loadcnt 0x10
	v_lshrrev_b32_e32 v26, 16, v56
	s_wait_loadcnt 0xf
	v_lshrrev_b32_e32 v25, 16, v54
	;; [unrolled: 2-line block ×3, first 2 shown]
	v_mul_f16_e32 v18, v18, v2
	v_fma_f16 v2, v70, v2, -v3
	s_wait_loadcnt 0xd
	v_lshrrev_b32_e32 v23, 16, v49
	s_wait_loadcnt 0xc
	v_lshrrev_b32_e32 v22, 16, v47
	;; [unrolled: 2-line block ×3, first 2 shown]
	v_mul_f16_e32 v20, v33, v5
	v_fmac_f16_e32 v18, v70, v4
	s_delay_alu instid0(VALU_DEP_3)
	v_mul_f16_e32 v3, v33, v19
	s_wait_loadcnt 0xa
	v_lshrrev_b32_e32 v4, 16, v7
	v_fma_f16 v19, v71, v19, -v20
	v_mul_f16_e32 v20, v21, v7
	v_pack_b32_f16 v2, v18, v2
	v_fmac_f16_e32 v3, v71, v5
	v_mul_f16_e32 v5, v21, v4
	s_wait_loadcnt 0x9
	v_lshrrev_b32_e32 v18, 16, v9
	v_mul_f16_e32 v21, v32, v9
	v_fma_f16 v4, v69, v4, -v20
	v_pack_b32_f16 v3, v3, v19
	v_fmac_f16_e32 v5, v69, v7
	v_mul_f16_e32 v7, v32, v18
	s_wait_loadcnt 0x8
	v_lshrrev_b32_e32 v19, 16, v10
	v_fma_f16 v18, v65, v18, -v21
	v_mul_f16_e32 v20, v31, v10
	ds_store_2addr_b32 v52, v2, v3 offset1:68
	v_pack_b32_f16 v2, v5, v4
	v_fmac_f16_e32 v7, v65, v9
	v_mul_f16_e32 v3, v31, v19
	s_wait_loadcnt 0x7
	v_lshrrev_b32_e32 v4, 16, v11
	v_mul_f16_e32 v5, v30, v11
	v_fma_f16 v9, v63, v19, -v20
	v_pack_b32_f16 v7, v7, v18
	v_fmac_f16_e32 v3, v63, v10
	v_mul_f16_e32 v10, v30, v4
	v_fma_f16 v4, v62, v4, -v5
	s_wait_loadcnt 0x6
	v_lshrrev_b32_e32 v5, 16, v13
	v_mul_f16_e32 v18, v29, v13
	ds_store_2addr_b32 v52, v2, v7 offset0:136 offset1:204
	v_pack_b32_f16 v2, v3, v9
	v_fmac_f16_e32 v10, v62, v11
	v_mul_f16_e32 v3, v29, v5
	s_wait_loadcnt 0x5
	v_lshrrev_b32_e32 v7, 16, v14
	v_mul_f16_e32 v9, v27, v14
	v_fma_f16 v5, v60, v5, -v18
	v_pack_b32_f16 v4, v10, v4
	v_fmac_f16_e32 v3, v60, v13
	v_mul_f16_e32 v10, v27, v7
	v_fma_f16 v7, v58, v7, -v9
	s_wait_loadcnt 0x4
	v_lshrrev_b32_e32 v9, 16, v15
	v_mul_f16_e32 v11, v26, v15
	v_pack_b32_f16 v3, v3, v5
	v_fmac_f16_e32 v10, v58, v14
	s_wait_loadcnt 0x3
	v_lshrrev_b32_e32 v5, 16, v16
	v_mul_f16_e32 v13, v26, v9
	v_fma_f16 v9, v56, v9, -v11
	v_mul_f16_e32 v11, v25, v16
	v_pack_b32_f16 v7, v10, v7
	v_mul_f16_e32 v10, v25, v5
	v_fmac_f16_e32 v13, v56, v15
	s_wait_loadcnt 0x2
	v_lshrrev_b32_e32 v14, 16, v17
	v_fma_f16 v5, v54, v5, -v11
	v_mul_f16_e32 v11, v24, v17
	s_wait_loadcnt 0x1
	v_lshrrev_b32_e32 v15, 16, v0
	s_wait_loadcnt 0x0
	v_lshrrev_b32_e32 v18, 16, v1
	v_fmac_f16_e32 v10, v54, v16
	v_mul_f16_e32 v16, v24, v14
	v_fma_f16 v11, v51, v14, -v11
	v_mul_f16_e32 v14, v23, v0
	v_mul_f16_e32 v19, v23, v15
	;; [unrolled: 1-line block ×4, first 2 shown]
	v_fmac_f16_e32 v16, v51, v17
	v_fma_f16 v14, v49, v15, -v14
	v_fmac_f16_e32 v19, v49, v0
	v_fma_f16 v0, v47, v18, -v20
	v_fmac_f16_e32 v21, v47, v1
	v_pack_b32_f16 v1, v13, v9
	v_pack_b32_f16 v5, v10, v5
	;; [unrolled: 1-line block ×5, first 2 shown]
	ds_store_2addr_b32 v8, v2, v4 offset0:16 offset1:84
	ds_store_2addr_b32 v8, v3, v7 offset0:152 offset1:220
	;; [unrolled: 1-line block ×4, first 2 shown]
	ds_store_b32 v52, v0 offset:3264
	global_wb scope:SCOPE_SE
	s_wait_dscnt 0x0
	s_wait_kmcnt 0x0
	s_barrier_signal -1
	s_barrier_wait -1
	global_inv scope:SCOPE_SE
	ds_load_2addr_b32 v[2:3], v52 offset1:68
	ds_load_b32 v7, v52 offset:3264
	ds_load_2addr_b32 v[4:5], v52 offset0:136 offset1:204
	ds_load_2addr_b32 v[0:1], v6 offset0:168 offset1:236
	v_mul_lo_u16 v11, v12, 13
	ds_load_2addr_b32 v[9:10], v8 offset0:16 offset1:84
	ds_load_2addr_b32 v[13:14], v6 offset0:32 offset1:100
	;; [unrolled: 1-line block ×3, first 2 shown]
	global_wb scope:SCOPE_SE
	s_wait_dscnt 0x0
	s_barrier_signal -1
	s_barrier_wait -1
	v_and_b32_e32 v11, 0xffff, v11
	global_inv scope:SCOPE_SE
                                        ; kill: def $vgpr12 killed $sgpr0 killed $exec
	v_lshl_add_u32 v77, v11, 2, v75
	v_pk_add_f16 v11, v2, v3
	v_pk_add_f16 v17, v7, v3
	v_pk_add_f16 v3, v3, v7 neg_lo:[0,1] neg_hi:[0,1]
	v_pk_add_f16 v19, v1, v4
	v_pk_add_f16 v20, v4, v1 neg_lo:[0,1] neg_hi:[0,1]
	v_pk_add_f16 v4, v11, v4
	v_pk_add_f16 v21, v0, v5
	v_pk_add_f16 v22, v5, v0 neg_lo:[0,1] neg_hi:[0,1]
	v_pk_add_f16 v23, v14, v9
	v_pk_add_f16 v24, v9, v14 neg_lo:[0,1] neg_hi:[0,1]
	v_pk_add_f16 v4, v4, v5
	v_pk_add_f16 v25, v13, v10
	v_pk_add_f16 v26, v10, v13 neg_lo:[0,1] neg_hi:[0,1]
	v_lshrrev_b32_e32 v11, 16, v3
	v_pk_mul_f16 v30, 0x3b15388b, v17
	v_pk_add_f16 v4, v4, v9
	v_lshrrev_b32_e32 v31, 16, v17
	v_mul_f16_e32 v32, 0xba95, v3
	v_mul_f16_e32 v33, 0xbbf1, v3
	v_mul_f16_e32 v34, 0xbb7b, v3
	v_mul_f16_e32 v35, 0xb94e, v3
	v_lshrrev_b32_e32 v36, 16, v19
	v_mul_f16_e32 v37, 0xbb7b, v20
	v_mul_f16_e32 v38, 0xb3a8, v20
	v_mul_f16_e32 v39, 0x394e, v20
	v_mul_f16_e32 v40, 0x3bf1, v20
	;; [unrolled: 5-line block ×3, first 2 shown]
	v_lshrrev_b32_e32 v46, 16, v23
	v_mul_f16_e32 v78, 0x394e, v24
	v_pk_mul_f16 v79, 0xbbc4, v17 op_sel_hi:[0,1]
	v_mul_f16_e32 v80, 0x3770, v24
	v_mul_f16_e32 v81, 0xbbf1, v24
	;; [unrolled: 1-line block ×3, first 2 shown]
	v_lshrrev_b32_e32 v83, 16, v25
	v_mul_f16_e32 v84, 0x3bf1, v26
	v_mul_f16_e32 v85, 0xba95, v26
	;; [unrolled: 1-line block ×4, first 2 shown]
	v_pk_mul_f16 v88, 0x388bb5ac, v19
	v_pk_mul_f16 v89, 0x3b15, v19 op_sel_hi:[0,1]
	v_lshrrev_b32_e32 v90, 16, v20
	v_pk_mul_f16 v91, 0x2fb7bbc4, v21
	v_pk_mul_f16 v92, 0xb9fd, v21 op_sel_hi:[0,1]
	v_lshrrev_b32_e32 v93, 16, v22
	v_mul_f16_e32 v5, 0xb770, v11
	v_pk_fma_f16 v107, 0xba95b770, v3, v30 op_sel:[0,0,1] op_sel_hi:[1,1,0] neg_lo:[0,1,0] neg_hi:[0,1,0]
	v_pk_fma_f16 v30, 0xba95b770, v3, v30 op_sel:[0,0,1] op_sel_hi:[1,1,0]
	v_mul_f16_e32 v109, 0xbbf1, v11
	v_mul_f16_e32 v111, 0xbb7b, v11
	;; [unrolled: 1-line block ×3, first 2 shown]
	v_pk_add_f16 v4, v4, v10
	v_lshrrev_b32_e32 v18, 16, v2
	v_fmamk_f16 v108, v31, 0x388b, v32
	v_fma_f16 v32, v31, 0x388b, -v32
	v_fmamk_f16 v110, v31, 0x2fb7, v33
	v_fma_f16 v33, v31, 0x2fb7, -v33
	;; [unrolled: 2-line block ×10, first 2 shown]
	v_pk_fma_f16 v118, 0xb3a8, v3, v79 op_sel:[0,0,1] op_sel_hi:[0,1,0] neg_lo:[0,1,0] neg_hi:[0,1,0]
	v_pk_fma_f16 v3, 0xb3a8, v3, v79 op_sel:[0,0,1] op_sel_hi:[0,1,0]
	v_fmamk_f16 v79, v41, 0x3b15, v44
	v_fma_f16 v44, v41, 0x3b15, -v44
	v_fmamk_f16 v119, v41, 0x388b, v45
	v_fma_f16 v41, v41, 0x388b, -v45
	;; [unrolled: 2-line block ×10, first 2 shown]
	v_pk_fma_f16 v87, 0xbb7bba95, v20, v88 op_sel:[0,0,1] op_sel_hi:[1,1,0] neg_lo:[0,1,0] neg_hi:[0,1,0]
	v_pk_fma_f16 v88, 0xbb7bba95, v20, v88 op_sel:[0,0,1] op_sel_hi:[1,1,0]
	v_pk_fma_f16 v126, 0x3770, v20, v89 op_sel:[0,0,1] op_sel_hi:[0,1,0] neg_lo:[0,1,0] neg_hi:[0,1,0]
	v_pk_fma_f16 v20, 0x3770, v20, v89 op_sel:[0,0,1] op_sel_hi:[0,1,0]
	v_mul_f16_e32 v89, 0xba95, v90
	v_mul_f16_e32 v127, 0xb3a8, v90
	v_mul_f16_e64 v128, 0x394e, v90
	v_mul_f16_e32 v90, 0x3bf1, v90
	v_pk_fma_f16 v129, 0xb3a8bbf1, v22, v91 op_sel:[0,0,1] op_sel_hi:[1,1,0] neg_lo:[0,1,0] neg_hi:[0,1,0]
	v_pk_fma_f16 v91, 0xb3a8bbf1, v22, v91 op_sel:[0,0,1] op_sel_hi:[1,1,0]
	v_pk_fma_f16 v130, 0xb94e, v22, v92 op_sel:[0,0,1] op_sel_hi:[0,1,0] neg_lo:[0,1,0] neg_hi:[0,1,0]
	v_pk_fma_f16 v22, 0xb94e, v22, v92 op_sel:[0,0,1] op_sel_hi:[0,1,0]
	v_mul_f16_e32 v92, 0xbbf1, v93
	v_mul_f16_e64 v131, 0x3b7b, v93
	v_mul_f16_e64 v132, 0x3770, v93
	v_mul_f16_e32 v93, 0xba95, v93
	v_fma_f16 v9, v17, 0x3b15, -v5
	v_fmac_f16_e32 v5, 0x3b15, v17
	v_fma_f16 v149, v17, 0x2fb7, -v109
	v_fmac_f16_e32 v109, 0x2fb7, v17
	;; [unrolled: 2-line block ×4, first 2 shown]
	v_bfi_b32 v17, 0xffff, v30, v107
	v_pk_add_f16 v4, v4, v15
	v_lshrrev_b32_e32 v94, 16, v24
	v_pk_mul_f16 v95, 0xb5acb9fd, v23
	v_pk_add_f16 v3, v2, v3 op_sel:[1,0] op_sel_hi:[0,1]
	v_fma_f16 v152, v19, 0x388b, -v89
	v_fmac_f16_e32 v89, 0x388b, v19
	v_fma_f16 v153, v19, 0xbbc4, -v127
	v_fmac_f16_e32 v127, 0xbbc4, v19
	v_fma_f16 v154, v19, 0xb9fd, -v128
	v_fmac_f16_e64 v128, 0xb9fd, v19
	v_fma_f16 v155, v19, 0x2fb7, -v90
	v_fmac_f16_e32 v90, 0x2fb7, v19
	v_fma_f16 v19, v21, 0x2fb7, -v92
	v_fmac_f16_e32 v92, 0x2fb7, v21
	v_fma_f16 v156, v21, 0xb5ac, -v131
	v_fmac_f16_e64 v131, 0xb5ac, v21
	v_fma_f16 v157, v21, 0x3b15, -v132
	v_fmac_f16_e64 v132, 0x3b15, v21
	v_fma_f16 v158, v21, 0x388b, -v93
	v_fmac_f16_e32 v93, 0x388b, v21
	v_add_f16_e32 v21, v18, v108
	v_add_f16_e32 v32, v18, v32
	;; [unrolled: 1-line block ×9, first 2 shown]
	v_bfi_b32 v107, 0xffff, v88, v87
	v_add_f16_e32 v9, v2, v9
	v_add_f16_e32 v5, v2, v5
	v_pk_add_f16 v10, v2, v17 op_sel:[1,0] op_sel_hi:[0,1]
	v_add_f16_e64 v17, v2, v149
	v_add_f16_e32 v109, v2, v109
	v_add_f16_e64 v149, v2, v150
	v_add_f16_e32 v111, v2, v111
	v_add_f16_e64 v150, v2, v151
	v_pk_add_f16 v4, v4, v16
	v_pk_add_f16 v27, v16, v15
	v_pk_add_f16 v29, v15, v16 neg_lo:[0,1] neg_hi:[0,1]
	v_lshrrev_b32_e32 v96, 16, v26
	v_pk_mul_f16 v97, 0xb9fd2fb7, v25
	v_mul_f16_e64 v133, 0xbb7b, v94
	v_pk_fma_f16 v134, 0x394ebb7b, v24, v95 op_sel:[0,0,1] op_sel_hi:[1,1,0]
	v_pk_fma_f16 v95, 0x394ebb7b, v24, v95 op_sel:[0,0,1] op_sel_hi:[1,1,0] neg_lo:[0,1,0] neg_hi:[0,1,0]
	v_mul_f16_e64 v135, 0x3770, v94
	v_mul_f16_e64 v136, 0xbbf1, v94
	v_mul_f16_e32 v94, 0x33a8, v94
	v_pk_add_f16 v30, v2, v30 op_sel:[1,0] op_sel_hi:[0,1]
	v_pk_add_f16 v118, v2, v118 op_sel:[1,0] op_sel_hi:[0,1]
	v_bfi_b32 v113, 0xffff, v91, v129
	v_add_f16_e32 v2, v2, v11
	v_add_f16_e32 v11, v35, v21
	;; [unrolled: 1-line block ×4, first 2 shown]
	v_pk_add_f16 v3, v20, v3
	v_add_f16_e64 v9, v152, v9
	v_add_f16_e32 v5, v89, v5
	v_pk_add_f16 v10, v107, v10
	v_add_f16_e64 v15, v153, v17
	v_add_f16_e32 v17, v127, v109
	v_add_f16_e64 v20, v154, v149
	v_add_f16_e64 v38, v128, v111
	;; [unrolled: 1-line block ×3, first 2 shown]
	v_pk_add_f16 v4, v4, v13
	v_lshrrev_b32_e32 v98, 16, v29
	v_pk_mul_f16 v99, 0xbbc43b15, v27
	v_mul_f16_e64 v137, 0xb94e, v96
	v_pk_fma_f16 v138, 0x3bf1b94e, v26, v97 op_sel:[0,0,1] op_sel_hi:[1,1,0] neg_lo:[0,1,0] neg_hi:[0,1,0]
	v_pk_fma_f16 v97, 0x3bf1b94e, v26, v97 op_sel:[0,0,1] op_sel_hi:[1,1,0]
	v_mul_f16_e64 v139, 0xba95, v96
	v_mul_f16_e64 v140, 0x33a8, v96
	v_mul_f16_e32 v96, 0x3770, v96
	v_fma_f16 v159, v23, 0xb5ac, -v133
	v_fmac_f16_e64 v133, 0xb5ac, v23
	v_bfi_b32 v160, 0xffff, v134, v95
	v_fma_f16 v161, v23, 0x3b15, -v135
	v_fmac_f16_e64 v135, 0x3b15, v23
	v_fma_f16 v162, v23, 0x2fb7, -v136
	v_fmac_f16_e64 v136, 0x2fb7, v23
	v_fma_f16 v163, v23, 0xbbc4, -v94
	v_add_f16_e32 v11, v40, v11
	v_add_f16_e32 v9, v19, v9
	;; [unrolled: 1-line block ×3, first 2 shown]
	v_pk_add_f16 v10, v113, v10
	v_add_f16_e64 v15, v156, v15
	v_add_f16_e64 v16, v131, v17
	;; [unrolled: 1-line block ×5, first 2 shown]
	v_pk_add_f16 v4, v4, v14
	v_lshrrev_b32_e32 v101, 16, v27
	v_mul_f16_e32 v102, 0x3770, v29
	v_pk_mul_f16 v106, 0x388b, v23 op_sel_hi:[0,1]
	v_mul_f16_e64 v141, 0xb3a8, v98
	v_pk_fma_f16 v142, 0x3770b3a8, v29, v99 op_sel:[0,0,1] op_sel_hi:[1,1,0] neg_lo:[0,1,0] neg_hi:[0,1,0]
	v_pk_fma_f16 v143, 0x3770b3a8, v29, v99 op_sel:[0,0,1] op_sel_hi:[1,1,0]
	v_mul_f16_e64 v145, 0xb94e, v98
	v_mul_f16_e64 v148, 0x3a95, v98
	v_mul_f16_e32 v98, 0xbb7b, v98
	v_fmac_f16_e32 v94, 0xbbc4, v23
	v_fma_f16 v23, v25, 0xb9fd, -v137
	v_fmac_f16_e64 v137, 0xb9fd, v25
	v_bfi_b32 v164, 0xffff, v97, v138
	v_fma_f16 v165, v25, 0x388b, -v139
	v_fmac_f16_e64 v139, 0x388b, v25
	v_fma_f16 v166, v25, 0xbbc4, -v140
	v_fmac_f16_e64 v140, 0xbbc4, v25
	v_fma_f16 v167, v25, 0x3b15, -v96
	v_add_f16_e32 v21, v37, v32
	v_add_f16_e32 v32, v114, v108
	;; [unrolled: 1-line block ×4, first 2 shown]
	v_pk_add_f16 v30, v88, v30
	v_add_f16_e32 v11, v45, v11
	v_add_f16_e64 v9, v159, v9
	v_add_f16_e64 v5, v133, v5
	v_pk_add_f16 v10, v160, v10
	v_add_f16_e64 v13, v161, v15
	v_add_f16_e64 v15, v135, v16
	;; [unrolled: 1-line block ×5, first 2 shown]
	v_pk_add_f16 v4, v4, v0
	v_fma_f16 v144, 0x3b15, v101, v102
	v_fma_f16 v168, v27, 0xbbc4, -v141
	v_fmac_f16_e64 v141, 0xbbc4, v27
	v_bfi_b32 v143, 0xffff, v143, v142
	v_fma_f16 v169, v27, 0xb9fd, -v145
	v_fmac_f16_e64 v145, 0xb9fd, v27
	v_fma_f16 v171, v27, 0x388b, -v148
	v_fmac_f16_e64 v148, 0x388b, v27
	v_fma_f16 v172, v27, 0xb5ac, -v98
	v_add_f16_e32 v31, v36, v31
	v_pk_add_f16 v36, v126, v118
	v_add_f16_e32 v21, v42, v21
	v_add_f16_e32 v32, v117, v32
	;; [unrolled: 1-line block ×4, first 2 shown]
	v_pk_add_f16 v30, v91, v30
	v_add_f16_e32 v11, v82, v11
	v_add_f16_e32 v9, v23, v9
	v_add_f16_e64 v5, v137, v5
	v_pk_add_f16 v10, v164, v10
	v_add_f16_e64 v13, v165, v13
	v_add_f16_e64 v14, v139, v15
	;; [unrolled: 1-line block ×5, first 2 shown]
	v_pk_add_f16 v1, v4, v1
	v_add_f16_e32 v18, v87, v18
	v_add_f16_e32 v2, v90, v2
	v_mul_f16_e32 v103, 0xb94e, v29
	v_mul_f16_e32 v104, 0x3a95, v29
	;; [unrolled: 1-line block ×3, first 2 shown]
	v_add_f16_e32 v33, v43, v33
	v_add_f16_e32 v21, v78, v21
	;; [unrolled: 1-line block ×5, first 2 shown]
	v_pk_add_f16 v30, v134, v30
	v_add_f16_e64 v11, v144, v11
	v_add_f16_e64 v9, v168, v9
	v_add_f16_e64 v0, v141, v5
	v_pk_add_f16 v5, v143, v10
	v_add_f16_e64 v10, v169, v13
	v_add_f16_e64 v13, v145, v14
	;; [unrolled: 1-line block ×5, first 2 shown]
	v_pk_add_f16 v1, v1, v7
	v_pk_add_f16 v7, v130, v36
	;; [unrolled: 1-line block ×3, first 2 shown]
	v_pk_fma_f16 v16, 0x3a95, v24, v106 op_sel:[0,0,1] op_sel_hi:[0,1,0] neg_lo:[0,1,0] neg_hi:[0,1,0]
	v_pk_mul_f16 v17, 0xb5ac, v25 op_sel_hi:[0,1]
	v_pk_fma_f16 v22, 0x3a95, v24, v106 op_sel:[0,0,1] op_sel_hi:[0,1,0]
	v_add_f16_e64 v18, v129, v18
	v_add_f16_e32 v34, v44, v34
	v_add_f16_e32 v31, v41, v31
	;; [unrolled: 1-line block ×3, first 2 shown]
	v_pk_mul_f16 v100, 0x3770b3a8, v29
	v_fma_f16 v102, v101, 0x3b15, -v102
	v_fma_f16 v146, 0x388b, v101, v104
	v_fma_f16 v104, v101, 0x388b, -v104
	v_fma_f16 v147, 0xb5ac, v101, v105
	v_fma_f16 v105, v101, 0xb5ac, -v105
	v_mul_f16_e32 v101, 0xb9fd, v101
	v_add_f16_e32 v33, v80, v33
	v_add_f16_e32 v20, v84, v21
	;; [unrolled: 1-line block ×5, first 2 shown]
	v_alignbit_b32 v11, v11, v5, 16
	v_pk_add_f16 v7, v16, v7
	v_pk_fma_f16 v16, 0xbb7b, v26, v17 op_sel:[0,0,1] op_sel_hi:[0,1,0] neg_lo:[0,1,0] neg_hi:[0,1,0]
	v_pk_add_f16 v3, v22, v3
	v_pk_fma_f16 v17, 0xbb7b, v26, v17 op_sel:[0,0,1] op_sel_hi:[0,1,0]
	v_pk_mul_f16 v22, 0x2fb7, v27 op_sel_hi:[0,1]
	v_pack_b32_f16 v5, v9, v5
	v_bfi_b32 v9, 0xffff, v103, v30
	v_add_f16_e32 v18, v95, v18
	v_fmac_f16_e32 v96, 0x3b15, v25
	v_add_f16_e32 v34, v81, v34
	v_add_f16_e32 v31, v46, v31
	;; [unrolled: 1-line block ×3, first 2 shown]
	v_add_f16_e64 v23, v147, v35
	v_pk_add_f16 v7, v16, v7
	v_pk_add_f16 v3, v17, v3
	v_pk_fma_f16 v16, 0x3bf1, v29, v22 op_sel:[0,0,1] op_sel_hi:[0,1,0] neg_lo:[0,1,0] neg_hi:[0,1,0]
	v_pack_b32_f16 v17, v85, v99
	v_bfi_b32 v24, 0xffff, v33, v100
	v_pk_add_f16 v9, v101, v9 neg_lo:[0,1] neg_hi:[0,1]
	v_pk_add_f16 v25, v97, v30
	v_fma_f16 v170, 0xb94e, v29, v101
	v_add_f16_e64 v18, v138, v18
	v_pk_fma_f16 v22, 0x3bf1, v29, v22 op_sel:[0,0,1] op_sel_hi:[0,1,0]
	v_fmac_f16_e32 v98, 0xb5ac, v27
	v_add_f16_e32 v34, v86, v34
	v_add_f16_e32 v37, v83, v31
	;; [unrolled: 1-line block ×3, first 2 shown]
	v_pack_b32_f16 v15, v15, v23
	v_pk_add_f16 v7, v16, v7
	v_pk_add_f16 v16, v17, v24
	v_bfi_b32 v9, 0xffff, v9, v25
	v_add_f16_e64 v31, v142, v18
	v_add_f16_e32 v18, v102, v20
	v_add_f16_e64 v19, v170, v21
	v_add_f16_e64 v20, v146, v32
	v_pk_add_f16 v3, v22, v3
	v_add_f16_e32 v21, v104, v34
	v_add_f16_e32 v32, v105, v37
	v_add_f16_e32 v2, v98, v2
	ds_store_2addr_b32 v77, v1, v15 offset1:5
	v_pk_add_f16 v1, v9, v16
	v_pack_b32_f16 v4, v4, v20
	v_pack_b32_f16 v10, v10, v19
	v_alignbit_b32 v9, v7, v3, 16
	v_alignbit_b32 v3, v3, v7, 16
	v_pack_b32_f16 v7, v14, v21
	v_pack_b32_f16 v2, v2, v32
	v_alignbit_b32 v14, v18, v1, 16
	v_pack_b32_f16 v1, v13, v1
	v_pack_b32_f16 v13, v0, v31
	ds_store_2addr_b32 v77, v5, v11 offset0:1 offset1:2
	ds_store_2addr_b32 v77, v10, v4 offset0:3 offset1:4
	ds_store_2addr_b32 v77, v3, v9 offset0:6 offset1:7
	ds_store_2addr_b32 v77, v2, v7 offset0:8 offset1:9
	ds_store_2addr_b32 v77, v1, v14 offset0:10 offset1:11
	ds_store_b32 v77, v13 offset:48
	v_add_nc_u32_e32 v1, 0xa00, v52
	global_wb scope:SCOPE_SE
	s_wait_dscnt 0x0
	s_barrier_signal -1
	s_barrier_wait -1
	global_inv scope:SCOPE_SE
	ds_load_2addr_b32 v[2:3], v52 offset1:68
	ds_load_2addr_b32 v[4:5], v52 offset0:136 offset1:221
	ds_load_2addr_b32 v[14:15], v8 offset0:186 offset1:254
	;; [unrolled: 1-line block ×5, first 2 shown]
                                        ; implicit-def: $vgpr13
                                        ; implicit-def: $vgpr30
                                        ; implicit-def: $vgpr29
                                        ; implicit-def: $vgpr32
	s_and_saveexec_b32 s0, vcc_lo
	s_cbranch_execz .LBB0_3
; %bb.2:
	v_add_nc_u32_e32 v0, 0x300, v52
	ds_load_2addr_b32 v[12:13], v1 offset0:6 offset1:227
	ds_load_2addr_b32 v[0:1], v0 offset0:12 offset1:233
	s_wait_dscnt 0x1
	v_lshrrev_b32_e32 v29, 16, v12
	s_wait_dscnt 0x0
	v_lshrrev_b32_e32 v31, 16, v0
	v_lshrrev_b32_e32 v32, 16, v1
	;; [unrolled: 1-line block ×3, first 2 shown]
.LBB0_3:
	s_wait_alu 0xfffe
	s_or_b32 exec_lo, exec_lo, s0
	v_and_b32_e32 v16, 0xff, v67
	v_add_nc_u16 v17, v67, 0x44
	v_add_nc_u16 v18, v67, 0xcc
	;; [unrolled: 1-line block ×3, first 2 shown]
	s_wait_dscnt 0x3
	v_lshrrev_b32_e32 v41, 16, v14
	v_mul_lo_u16 v16, 0x4f, v16
	v_and_b32_e32 v20, 0xff, v17
	v_and_b32_e32 v21, 0xffff, v18
	s_wait_dscnt 0x2
	v_lshrrev_b32_e32 v42, 16, v7
	s_wait_dscnt 0x1
	v_lshrrev_b32_e32 v44, 16, v10
	v_lshrrev_b16 v35, 10, v16
	v_and_b32_e32 v16, 0xff, v19
	v_mul_lo_u16 v20, 0x4f, v20
	v_mul_u32_u24_e32 v21, 0x4ec5, v21
	v_lshrrev_b32_e32 v45, 16, v15
	v_mul_lo_u16 v22, v35, 13
	v_mul_lo_u16 v16, 0x4f, v16
	v_lshrrev_b16 v36, 10, v20
	v_lshrrev_b32_e32 v21, 18, v21
	v_and_b32_e32 v35, 0xffff, v35
	v_sub_nc_u16 v20, v67, v22
	v_lshrrev_b16 v37, 10, v16
	v_mul_lo_u16 v16, v36, 13
	scratch_store_b32 off, v21, off         ; 4-byte Folded Spill
	v_mul_lo_u16 v21, v21, 13
	v_and_b32_e32 v38, 0xff, v20
	v_mul_lo_u16 v20, v37, 13
	v_sub_nc_u16 v22, v17, v16
	v_and_b32_e32 v36, 0xffff, v36
	v_sub_nc_u16 v79, v18, v21
	v_mad_co_u64_u32 v[16:17], null, v38, 12, s[10:11]
	s_delay_alu instid0(VALU_DEP_4) | instskip(SKIP_1) | instid1(VALU_DEP_4)
	v_and_b32_e32 v39, 0xff, v22
	v_sub_nc_u16 v20, v19, v20
	v_mul_lo_u16 v21, v79, 12
	v_and_b32_e32 v37, 0xffff, v37
	v_mul_u32_u24_e32 v35, 52, v35
	v_mad_co_u64_u32 v[18:19], null, v39, 12, s[10:11]
	v_and_b32_e32 v40, 0xff, v20
	v_and_b32_e32 v20, 0xffff, v21
	global_load_b96 v[25:27], v[16:17], off
	v_mul_u32_u24_e32 v36, 52, v36
	v_mul_u32_u24_e32 v37, 52, v37
	v_add_nc_u32_e32 v35, v35, v38
	global_load_b96 v[22:24], v[18:19], off
	v_mad_co_u64_u32 v[16:17], null, v40, 12, s[10:11]
	v_add_co_u32 v33, s0, s10, v20
	s_wait_alu 0xf1ff
	v_add_co_ci_u32_e64 v34, null, s11, 0, s0
	s_clause 0x1
	global_load_b96 v[19:21], v[16:17], off
	global_load_b96 v[16:18], v[33:34], off
	v_lshrrev_b32_e32 v34, 16, v5
	v_add_nc_u32_e32 v36, v36, v39
	v_add_nc_u32_e32 v37, v37, v40
	s_wait_dscnt 0x0
	v_lshrrev_b32_e32 v46, 16, v8
	v_lshl_add_u32 v53, v35, 2, v75
	v_lshrrev_b32_e32 v84, 16, v11
	v_lshl_add_u32 v50, v36, 2, v75
	v_lshl_add_u32 v48, v37, 2, v75
	v_lshrrev_b32_e32 v38, 16, v6
	v_lshrrev_b32_e32 v39, 16, v9
	;; [unrolled: 1-line block ×5, first 2 shown]
	global_wb scope:SCOPE_SE
	s_wait_loadcnt 0x0
	s_wait_storecnt 0x0
	s_barrier_signal -1
	s_barrier_wait -1
	global_inv scope:SCOPE_SE
	scratch_store_b32 off, v53, off offset:12 ; 4-byte Folded Spill
	v_lshrrev_b32_e32 v106, 16, v25
	v_lshrrev_b32_e32 v104, 16, v26
	;; [unrolled: 1-line block ×4, first 2 shown]
	s_delay_alu instid0(VALU_DEP_4)
	v_mul_f16_e32 v35, v34, v106
	v_mul_f16_e32 v36, v5, v106
	;; [unrolled: 1-line block ×6, first 2 shown]
	v_lshrrev_b32_e32 v101, 16, v23
	v_lshrrev_b32_e32 v68, 16, v24
	;; [unrolled: 1-line block ×8, first 2 shown]
	v_fma_f16 v5, v5, v25, -v35
	v_fmac_f16_e32 v36, v34, v25
	v_fma_f16 v14, v14, v26, -v37
	v_fmac_f16_e32 v40, v41, v26
	;; [unrolled: 2-line block ×3, first 2 shown]
	v_mul_f16_e32 v34, v44, v103
	v_mul_f16_e32 v35, v10, v103
	;; [unrolled: 1-line block ×18, first 2 shown]
	v_fma_f16 v10, v10, v22, -v34
	v_fmac_f16_e32 v35, v44, v22
	v_fma_f16 v15, v15, v23, -v37
	v_fmac_f16_e32 v41, v45, v23
	;; [unrolled: 2-line block ×3, first 2 shown]
	v_sub_f16_e32 v14, v2, v14
	v_sub_f16_e32 v37, v33, v40
	v_sub_f16_e32 v7, v5, v7
	v_sub_f16_e32 v34, v36, v86
	v_fma_f16 v11, v11, v19, -v87
	v_fmac_f16_e32 v88, v84, v19
	v_fma_f16 v6, v6, v20, -v91
	v_fmac_f16_e32 v92, v38, v20
	;; [unrolled: 2-line block ×6, first 2 shown]
	v_fma_f16 v2, v2, 2.0, -v14
	v_fma_f16 v32, v33, 2.0, -v37
	;; [unrolled: 1-line block ×4, first 2 shown]
	v_sub_f16_e32 v30, v14, v34
	v_add_f16_e32 v111, v37, v7
	v_sub_f16_e32 v7, v3, v15
	v_sub_f16_e32 v15, v43, v41
	;; [unrolled: 1-line block ×13, first 2 shown]
	v_fma_f16 v34, v14, 2.0, -v30
	v_fma_f16 v3, v3, 2.0, -v7
	;; [unrolled: 1-line block ×6, first 2 shown]
	v_add_f16_e32 v113, v15, v8
	v_fma_f16 v4, v4, 2.0, -v6
	v_fma_f16 v8, v83, 2.0, -v39
	;; [unrolled: 1-line block ×4, first 2 shown]
	v_sub_f16_e32 v112, v32, v33
	v_sub_f16_e32 v36, v7, v36
	;; [unrolled: 1-line block ×3, first 2 shown]
	v_add_f16_e64 v140, v39, v9
	v_fma_f16 v0, v0, 2.0, -v12
	v_fma_f16 v31, v31, 2.0, -v45
	;; [unrolled: 1-line block ×4, first 2 shown]
	v_sub_f16_e32 v35, v3, v10
	v_sub_f16_e64 v132, v5, v14
	v_sub_f16_e32 v41, v4, v11
	v_sub_f16_e64 v141, v8, v37
	v_pack_b32_f16 v9, v30, v111
	v_sub_f16_e32 v40, v12, v40
	v_add_f16_e64 v139, v45, v13
	v_fma_f16 v33, v2, 2.0, -v29
	v_fma_f16 v114, v32, 2.0, -v112
	;; [unrolled: 1-line block ×6, first 2 shown]
	v_pack_b32_f16 v6, v29, v112
	v_sub_f16_e32 v39, v0, v1
	v_sub_f16_e64 v143, v31, v43
	v_fma_f16 v37, v3, 2.0, -v35
	v_fma_f16 v134, v5, 2.0, -v132
	;; [unrolled: 1-line block ×4, first 2 shown]
	v_pack_b32_f16 v2, v34, v131
	v_pack_b32_f16 v10, v42, v140
	v_fma_f16 v46, v12, 2.0, -v40
	v_fma_f16 v144, v45, 2.0, -v139
	v_pack_b32_f16 v1, v33, v114
	ds_store_2addr_b32 v53, v6, v9 offset0:26 offset1:39
	v_pack_b32_f16 v3, v38, v133
	v_pack_b32_f16 v6, v41, v141
	v_fma_f16 v45, v0, 2.0, -v39
	v_pack_b32_f16 v0, v37, v134
	v_fma_f16 v146, v31, 2.0, -v143
	v_pack_b32_f16 v7, v36, v113
	v_pack_b32_f16 v4, v35, v132
	;; [unrolled: 1-line block ×4, first 2 shown]
	ds_store_2addr_b32 v53, v1, v2 offset1:13
	ds_store_2addr_b32 v50, v4, v7 offset0:26 offset1:39
	scratch_store_b32 off, v50, off offset:8 ; 4-byte Folded Spill
	ds_store_2addr_b32 v50, v0, v3 offset1:13
	ds_store_2addr_b32 v48, v8, v5 offset1:13
	scratch_store_b32 off, v48, off offset:4 ; 4-byte Folded Spill
	ds_store_2addr_b32 v48, v6, v10 offset0:26 offset1:39
	s_and_saveexec_b32 s0, vcc_lo
	s_cbranch_execz .LBB0_5
; %bb.4:
	scratch_load_b32 v0, off, off           ; 4-byte Folded Reload
	v_perm_b32 v1, v146, v45, 0x5040100
	v_perm_b32 v2, v144, v46, 0x5040100
	;; [unrolled: 1-line block ×4, first 2 shown]
	s_wait_loadcnt 0x0
	v_mad_u16 v0, v0, 52, v79
	s_delay_alu instid0(VALU_DEP_1) | instskip(NEXT) | instid1(VALU_DEP_1)
	v_and_b32_e32 v0, 0xffff, v0
	v_lshl_add_u32 v0, v0, 2, v75
	ds_store_2addr_b32 v0, v1, v2 offset1:13
	ds_store_2addr_b32 v0, v3, v4 offset0:26 offset1:39
.LBB0_5:
	s_wait_alu 0xfffe
	s_or_b32 exec_lo, exec_lo, s0
	v_add_co_u32 v31, s0, s8, v76
	s_wait_alu 0xf1ff
	v_add_co_ci_u32_e64 v32, null, s9, 0, s0
	v_cmp_gt_u16_e64 s0, 52, v67
	global_wb scope:SCOPE_SE
	s_wait_storecnt_dscnt 0x0
	s_barrier_signal -1
	s_barrier_wait -1
	global_inv scope:SCOPE_SE
                                        ; implicit-def: $vgpr147
                                        ; implicit-def: $vgpr148
	s_and_saveexec_b32 s1, s0
	s_cbranch_execz .LBB0_7
; %bb.6:
	v_add_nc_u32_e32 v0, 0x200, v52
	v_add_nc_u32_e32 v1, 0x400, v52
	ds_load_2addr_b32 v[33:34], v52 offset1:52
	ds_load_2addr_b32 v[29:30], v52 offset0:104 offset1:156
	ds_load_2addr_b32 v[37:38], v0 offset0:80 offset1:132
	v_add_nc_u32_e32 v0, 0x800, v52
	ds_load_2addr_b32 v[35:36], v1 offset0:56 offset1:108
	ds_load_2addr_b32 v[43:44], v1 offset0:160 offset1:212
	v_add_nc_u32_e32 v1, 0xa00, v52
	ds_load_2addr_b32 v[41:42], v0 offset0:8 offset1:60
	ds_load_2addr_b32 v[45:46], v0 offset0:112 offset1:164
	;; [unrolled: 1-line block ×3, first 2 shown]
	ds_load_b32 v147, v52 offset:3328
	s_wait_dscnt 0x8
	v_lshrrev_b32_e32 v114, 16, v33
	v_lshrrev_b32_e32 v131, 16, v34
	s_wait_dscnt 0x7
	v_lshrrev_b32_e32 v112, 16, v29
	v_lshrrev_b32_e32 v111, 16, v30
	;; [unrolled: 3-line block ×8, first 2 shown]
	s_wait_dscnt 0x0
	v_lshrrev_b32_e32 v148, 16, v147
.LBB0_7:
	s_wait_alu 0xfffe
	s_or_b32 exec_lo, exec_lo, s1
	v_lshlrev_b32_e32 v0, 4, v67
	s_delay_alu instid0(VALU_DEP_1) | instskip(SKIP_2) | instid1(VALU_DEP_2)
	v_add_co_u32 v2, s1, 0xfffffcc0, v0
	s_wait_alu 0xf1ff
	v_add_co_ci_u32_e64 v1, null, 0, -1, s1
	v_cndmask_b32_e64 v0, v2, v0, s0
	s_delay_alu instid0(VALU_DEP_2) | instskip(NEXT) | instid1(VALU_DEP_1)
	v_cndmask_b32_e64 v1, v1, 0, s0
	v_lshlrev_b64_e32 v[0:1], 2, v[0:1]
	s_delay_alu instid0(VALU_DEP_1) | instskip(SKIP_1) | instid1(VALU_DEP_2)
	v_add_co_u32 v12, s1, s10, v0
	s_wait_alu 0xf1ff
	v_add_co_ci_u32_e64 v13, s1, s11, v1, s1
	s_clause 0x3
	global_load_b128 v[8:11], v[12:13], off offset:156
	global_load_b128 v[0:3], v[12:13], off offset:172
	;; [unrolled: 1-line block ×4, first 2 shown]
	s_wait_loadcnt 0x3
	v_lshrrev_b32_e32 v80, 16, v8
	v_lshrrev_b32_e32 v74, 16, v9
	;; [unrolled: 1-line block ×3, first 2 shown]
	s_wait_loadcnt 0x0
	v_lshrrev_b32_e32 v81, 16, v15
	v_lshrrev_b32_e32 v57, 16, v1
	;; [unrolled: 1-line block ×3, first 2 shown]
	v_mul_f16_e64 v135, v131, v80
	v_mul_f16_e64 v129, v34, v80
	;; [unrolled: 1-line block ×4, first 2 shown]
	v_lshrrev_b32_e32 v72, 16, v10
	v_lshrrev_b32_e32 v61, 16, v0
	;; [unrolled: 1-line block ×4, first 2 shown]
	v_mul_f16_e64 v136, v112, v74
	v_mul_f16_e64 v130, v29, v74
	v_mul_f16_e32 v127, v37, v66
	v_mul_f16_e64 v151, v132, v57
	v_mul_f16_e64 v160, v139, v78
	v_mul_f16_e32 v116, v40, v78
	v_fma_f16 v175, v34, v8, -v135
	v_fmac_f16_e64 v129, v131, v8
	v_fma_f16 v34, v147, v15, -v161
	v_fmac_f16_e64 v115, v148, v15
	v_lshrrev_b32_e32 v48, 16, v3
	v_lshrrev_b32_e32 v55, 16, v5
	;; [unrolled: 1-line block ×4, first 2 shown]
	v_mul_f16_e64 v137, v111, v72
	v_mul_f16_e64 v128, v30, v72
	;; [unrolled: 1-line block ×3, first 2 shown]
	v_mul_f16_e32 v126, v38, v61
	v_mul_f16_e32 v125, v35, v57
	v_mul_f16_e64 v152, v113, v53
	v_mul_f16_e64 v159, v143, v73
	v_mul_f16_e32 v117, v39, v73
	v_fma_f16 v138, v29, v9, -v136
	v_fmac_f16_e64 v130, v112, v9
	v_fmac_f16_e64 v127, v134, v11
	v_fma_f16 v134, v35, v1, -v151
	v_fma_f16 v35, v40, v14, -v160
	v_fmac_f16_e64 v116, v139, v14
	v_sub_f16_e64 v147, v175, v34
	v_sub_f16_e64 v223, v129, v115
	v_lshrrev_b32_e32 v50, 16, v4
	v_lshrrev_b32_e32 v64, 16, v7
	v_mul_f16_e64 v150, v133, v61
	v_mul_f16_e32 v124, v36, v53
	v_mul_f16_e64 v153, v145, v48
	v_mul_f16_e64 v155, v141, v55
	;; [unrolled: 1-line block ×4, first 2 shown]
	v_mul_f16_e32 v118, v46, v68
	v_fma_f16 v137, v30, v10, -v137
	v_fmac_f16_e64 v128, v111, v10
	v_fmac_f16_e64 v126, v133, v0
	v_fma_f16 v133, v36, v2, -v152
	v_fma_f16 v36, v39, v13, -v159
	v_fmac_f16_e64 v117, v143, v13
	v_add_f16_e64 v219, v175, v34
	v_add_f16_e64 v39, v129, v115
	v_sub_f16_e64 v148, v138, v35
	v_sub_f16_e64 v152, v130, v116
	v_mul_f16_e64 v229, 0xb5c8, v223
	v_mul_f16_e64 v169, 0xb5c8, v147
	;; [unrolled: 1-line block ×8, first 2 shown]
	v_mul_f16_e32 v123, v43, v48
	v_mul_f16_e64 v154, v142, v50
	v_mul_f16_e32 v121, v41, v55
	v_mul_f16_e32 v120, v42, v59
	v_mul_f16_e64 v157, v146, v64
	v_mul_f16_e32 v119, v45, v64
	v_fma_f16 v136, v37, v11, -v149
	v_fmac_f16_e64 v125, v132, v1
	v_fma_f16 v132, v43, v3, -v153
	v_fma_f16 v43, v41, v5, -v155
	;; [unrolled: 1-line block ×4, first 2 shown]
	v_fmac_f16_e64 v118, v144, v12
	v_add_f16_e64 v40, v138, v35
	v_add_f16_e64 v42, v130, v116
	v_sub_f16_e64 v149, v137, v36
	v_sub_f16_e64 v155, v128, v117
	v_mul_f16_e64 v162, 0xb964, v152
	v_mul_f16_e64 v170, 0xb964, v148
	;; [unrolled: 1-line block ×8, first 2 shown]
	v_fma_f16 v29, 0x3722, v219, v231
	v_fma_f16 v30, 0x2de8, v219, v232
	;; [unrolled: 1-line block ×3, first 2 shown]
	v_fma_f16 v234, v39, 0x3b76, -v169
	v_fma_f16 v237, 0x39e9, v219, v230
	v_fma_f16 v240, v39, 0x39e9, -v187
	v_fma_f16 v243, v39, 0x3722, -v207
	;; [unrolled: 1-line block ×3, first 2 shown]
	v_mul_f16_e32 v122, v44, v50
	v_fma_f16 v135, v38, v0, -v150
	v_fma_f16 v131, v44, v4, -v154
	v_fmac_f16_e64 v120, v140, v6
	v_fma_f16 v38, v45, v7, -v157
	v_fmac_f16_e64 v119, v146, v7
	v_add_f16_e64 v139, v137, v36
	v_add_f16_e64 v140, v128, v117
	v_sub_f16_e64 v150, v136, v37
	v_sub_f16_e64 v157, v127, v118
	v_mul_f16_e64 v163, 0xbb29, v155
	v_mul_f16_e64 v165, 0xbb29, v149
	;; [unrolled: 1-line block ×8, first 2 shown]
	v_fma_f16 v44, 0xb8d2, v40, v199
	v_fma_f16 v45, 0xbbdd, v40, v218
	;; [unrolled: 1-line block ×3, first 2 shown]
	v_fma_f16 v248, v42, 0x39e9, -v170
	v_fma_f16 v249, 0x2de8, v40, v181
	v_fma_f16 v250, v42, 0x2de8, -v188
	v_fma_f16 v251, v42, 0xb8d2, -v208
	;; [unrolled: 1-line block ×3, first 2 shown]
	v_add_f16_e32 v29, v33, v29
	v_add_f16_e32 v30, v33, v30
	;; [unrolled: 1-line block ×3, first 2 shown]
	v_add_f16_e64 v234, v114, v234
	v_add_f16_e64 v237, v33, v237
	;; [unrolled: 1-line block ×5, first 2 shown]
	v_fmac_f16_e64 v122, v142, v4
	v_fmac_f16_e64 v121, v141, v5
	v_add_f16_e64 v141, v136, v37
	v_add_f16_e64 v142, v127, v118
	v_sub_f16_e64 v158, v126, v119
	v_sub_f16_e64 v200, v135, v38
	v_mul_f16_e64 v159, 0xbbf7, v157
	v_mul_f16_e64 v166, 0xbbf7, v150
	;; [unrolled: 1-line block ×8, first 2 shown]
	v_fma_f16 v46, 0xbbdd, v139, v198
	v_fma_f16 v111, 0xb461, v139, v217
	v_fma_f16 v253, 0x3722, v139, v163
	v_fma_f16 v254, v140, 0x3722, -v165
	v_fma_f16 v255, 0xb8d2, v139, v180
	v_fma_f16 v48, v140, 0xb8d2, -v189
	v_fma_f16 v50, v140, 0xbbdd, -v205
	;; [unrolled: 1-line block ×3, first 2 shown]
	v_add_f16_e32 v29, v44, v29
	v_add_f16_e32 v30, v45, v30
	v_add_f16_e64 v44, v247, v112
	v_add_f16_e64 v45, v248, v234
	;; [unrolled: 1-line block ×6, first 2 shown]
	v_fmac_f16_e32 v124, v113, v2
	v_add_f16_e64 v143, v135, v38
	v_sub_f16_e64 v173, v125, v120
	v_add_f16_e64 v151, v126, v119
	v_sub_f16_e64 v202, v134, v41
	v_mul_f16_e64 v196, 0x3964, v158
	v_mul_f16_e64 v210, 0xbb29, v158
	;; [unrolled: 1-line block ×8, first 2 shown]
	v_fma_f16 v113, 0xb461, v141, v197
	v_fma_f16 v233, 0x3b76, v141, v215
	;; [unrolled: 1-line block ×3, first 2 shown]
	v_fma_f16 v57, v142, 0x2de8, -v166
	v_fma_f16 v59, 0xbbdd, v141, v182
	v_fma_f16 v61, v142, 0xbbdd, -v194
	v_fma_f16 v64, v142, 0xb461, -v214
	;; [unrolled: 1-line block ×3, first 2 shown]
	v_add_f16_e32 v29, v46, v29
	v_add_f16_e32 v30, v111, v30
	v_add_f16_e64 v44, v253, v44
	v_add_f16_e64 v45, v254, v45
	v_add_f16_e64 v46, v255, v112
	v_add_f16_e64 v48, v48, v234
	v_add_f16_e64 v50, v50, v237
	v_add_f16_e64 v53, v53, v240
	v_fmac_f16_e64 v123, v145, v3
	v_add_f16_e64 v144, v134, v41
	v_sub_f16_e64 v177, v124, v121
	v_add_f16_e64 v153, v125, v120
	v_sub_f16_e64 v206, v133, v43
	v_mul_f16_e64 v195, 0xb5c8, v173
	v_mul_f16_e64 v204, 0xb836, v173
	;; [unrolled: 1-line block ×8, first 2 shown]
	v_fma_f16 v235, 0x39e9, v143, v196
	v_fma_f16 v236, 0x3722, v143, v210
	;; [unrolled: 1-line block ×3, first 2 shown]
	v_fma_f16 v72, v151, 0xb461, -v176
	v_fma_f16 v73, 0xbacd, v143, v185
	v_fma_f16 v74, v151, 0xbacd, -v191
	v_fma_f16 v78, v151, 0x39e9, -v213
	;; [unrolled: 1-line block ×3, first 2 shown]
	v_add_f16_e32 v29, v113, v29
	v_add_f16_e64 v30, v233, v30
	v_add_f16_e32 v44, v55, v44
	v_add_f16_e32 v45, v57, v45
	;; [unrolled: 1-line block ×6, first 2 shown]
	v_add_f16_e64 v145, v133, v43
	v_sub_f16_e64 v179, v123, v122
	v_add_f16_e64 v154, v124, v121
	v_sub_f16_e64 v216, v132, v131
	v_mul_f16_e64 v193, 0xbbf7, v177
	v_mul_f16_e64 v203, 0x3a62, v177
	;; [unrolled: 1-line block ×8, first 2 shown]
	v_fma_f16 v238, 0x3b76, v144, v195
	v_fma_f16 v239, 0xbacd, v144, v204
	;; [unrolled: 1-line block ×3, first 2 shown]
	v_fma_f16 v85, v153, 0xb8d2, -v174
	v_fma_f16 v86, 0xb461, v144, v184
	v_fma_f16 v87, v153, 0xb461, -v192
	v_fma_f16 v88, v153, 0x3b76, -v211
	;; [unrolled: 1-line block ×3, first 2 shown]
	v_add_f16_e64 v29, v235, v29
	v_add_f16_e64 v30, v236, v30
	v_add_f16_e32 v44, v68, v44
	v_add_f16_e32 v45, v72, v45
	;; [unrolled: 1-line block ×6, first 2 shown]
	v_add_f16_e64 v146, v132, v131
	v_add_f16_e64 v156, v123, v122
	v_mul_f16_e64 v178, 0xb836, v179
	v_mul_f16_e64 v201, 0x3964, v179
	;; [unrolled: 1-line block ×8, first 2 shown]
	v_fma_f16 v241, 0x2de8, v145, v193
	v_fma_f16 v242, 0xb8d2, v145, v203
	;; [unrolled: 1-line block ×3, first 2 shown]
	v_fma_f16 v94, v154, 0xbacd, -v172
	v_fma_f16 v97, 0x3722, v145, v183
	v_fma_f16 v100, v154, 0x3722, -v190
	v_fma_f16 v105, v154, 0x2de8, -v209
	;; [unrolled: 1-line block ×3, first 2 shown]
	v_add_f16_e64 v29, v238, v29
	v_add_f16_e64 v30, v239, v30
	v_add_f16_e32 v44, v84, v44
	v_add_f16_e32 v45, v85, v45
	v_add_f16_e32 v46, v86, v46
	v_add_f16_e32 v48, v87, v48
	v_add_f16_e32 v50, v88, v50
	v_add_f16_e32 v53, v91, v53
	v_fma_f16 v244, 0xbacd, v146, v178
	v_fma_f16 v245, 0x39e9, v146, v201
	;; [unrolled: 1-line block ×3, first 2 shown]
	v_fma_f16 v109, v156, 0xbbdd, -v168
	v_fma_f16 v110, 0x3b76, v146, v161
	v_fma_f16 v80, v156, 0x3b76, -v186
	v_fma_f16 v81, v156, 0xbacd, -v212
	;; [unrolled: 1-line block ×3, first 2 shown]
	v_add_f16_e64 v29, v241, v29
	v_add_f16_e64 v55, v242, v30
	v_add_f16_e32 v44, v92, v44
	v_add_f16_e32 v45, v94, v45
	v_add_f16_e32 v46, v97, v46
	v_add_f16_e32 v48, v100, v48
	v_add_f16_e32 v50, v105, v50
	v_add_f16_e32 v53, v107, v53
	v_add_f16_e64 v30, v244, v29
	v_add_f16_e64 v29, v245, v55
	v_add_f16_e32 v44, v108, v44
	v_add_f16_e32 v45, v109, v45
	;; [unrolled: 1-line block ×6, first 2 shown]
	s_and_saveexec_b32 s1, s0
	s_cbranch_execz .LBB0_9
; %bb.8:
	v_mul_f16_e64 v233, 0x2de8, v219
	v_mul_f16_e64 v50, 0x3722, v219
	;; [unrolled: 1-line block ×8, first 2 shown]
	v_sub_f16_e64 v48, v233, v232
	v_sub_f16_e64 v50, v50, v231
	;; [unrolled: 1-line block ×3, first 2 shown]
	v_fma_f16 v64, 0xbbdd, v219, v55
	v_fma_f16 v55, v219, 0xbbdd, -v55
	v_fma_f16 v66, 0xbacd, v219, v57
	v_fma_f16 v57, v219, 0xbacd, -v57
	;; [unrolled: 2-line block ×4, first 2 shown]
	v_sub_f16_e64 v73, v73, v229
	v_add_f16_e32 v68, v33, v68
	v_add_f16_e32 v66, v33, v66
	v_add_f16_e32 v72, v33, v72
	v_add_f16_e32 v64, v33, v64
	v_add_f16_e32 v55, v33, v55
	v_add_f16_e32 v57, v33, v57
	v_add_f16_e32 v61, v33, v61
	v_add_f16_e32 v59, v33, v59
	v_add_f16_e32 v48, v33, v48
	v_add_f16_e32 v50, v33, v50
	v_add_f16_e32 v53, v33, v53
	v_add_f16_e64 v74, v33, v175
	v_add_f16_e32 v33, v33, v73
	v_mul_f16_e32 v73, 0xb461, v39
	v_mul_f16_e32 v80, 0xbacd, v42
	;; [unrolled: 1-line block ×3, first 2 shown]
	v_mul_f16_e64 v237, 0x3722, v42
	v_mul_f16_e64 v253, 0x3b76, v42
	v_fma_f16 v78, 0x3bb2, v147, v73
	v_fma_f16 v81, 0xb836, v148, v80
	;; [unrolled: 1-line block ×5, first 2 shown]
	v_add_f16_e32 v78, v114, v78
	v_fmac_f16_e64 v253, 0x35c8, v148
	v_fmac_f16_e64 v73, 0xbbb2, v147
	;; [unrolled: 1-line block ×3, first 2 shown]
	v_add_f16_e64 v74, v74, v138
	v_add_f16_e32 v78, v81, v78
	v_mul_f16_e64 v81, 0x39e9, v140
	v_add_f16_e32 v73, v114, v73
	v_fmac_f16_e64 v105, 0x3bb2, v148
	v_add_f16_e64 v74, v74, v137
	v_fmac_f16_e64 v237, 0x3b29, v148
	v_fma_f16 v82, 0xb964, v149, v81
	v_add_f16_e32 v73, v80, v73
	v_fmac_f16_e64 v81, 0x3964, v149
	v_add_f16_e64 v74, v74, v136
	s_delay_alu instid0(VALU_DEP_4) | instskip(SKIP_1) | instid1(VALU_DEP_4)
	v_add_f16_e32 v78, v82, v78
	v_mul_f16_e64 v82, 0x3722, v142
	v_add_f16_e32 v73, v81, v73
	s_delay_alu instid0(VALU_DEP_4) | instskip(NEXT) | instid1(VALU_DEP_3)
	v_add_f16_e64 v74, v74, v135
	v_fma_f16 v83, 0x3b29, v150, v82
	v_fmac_f16_e64 v82, 0xbb29, v150
	s_delay_alu instid0(VALU_DEP_3) | instskip(NEXT) | instid1(VALU_DEP_3)
	v_add_f16_e64 v74, v74, v134
	v_add_f16_e32 v78, v83, v78
	v_mul_f16_e64 v83, 0xbbdd, v151
	s_delay_alu instid0(VALU_DEP_4) | instskip(NEXT) | instid1(VALU_DEP_4)
	v_add_f16_e32 v73, v82, v73
	v_add_f16_e64 v74, v74, v133
	s_delay_alu instid0(VALU_DEP_3) | instskip(SKIP_1) | instid1(VALU_DEP_2)
	v_fma_f16 v84, 0x31e1, v200, v83
	v_fmac_f16_e64 v83, 0xb1e1, v200
	v_add_f16_e32 v78, v84, v78
	v_mul_f16_e64 v84, 0x3836, v152
	s_delay_alu instid0(VALU_DEP_3) | instskip(NEXT) | instid1(VALU_DEP_2)
	v_add_f16_e32 v73, v83, v73
	v_fmamk_f16 v85, v40, 0xbacd, v84
	s_delay_alu instid0(VALU_DEP_1) | instskip(SKIP_1) | instid1(VALU_DEP_1)
	v_add_f16_e32 v72, v85, v72
	v_mul_f16_e64 v85, 0x2de8, v153
	v_fma_f16 v86, 0xbbf7, v202, v85
	v_fmac_f16_e64 v85, 0x3bf7, v202
	s_delay_alu instid0(VALU_DEP_2) | instskip(SKIP_1) | instid1(VALU_DEP_3)
	v_add_f16_e32 v78, v86, v78
	v_mul_f16_e64 v86, 0x3964, v155
	v_add_f16_e32 v73, v85, v73
	v_mul_f16_e32 v85, 0x2de8, v42
	s_delay_alu instid0(VALU_DEP_3) | instskip(NEXT) | instid1(VALU_DEP_2)
	v_fma_f16 v87, 0x39e9, v139, v86
	v_add_f16_e64 v85, v188, v85
	s_delay_alu instid0(VALU_DEP_2) | instskip(SKIP_1) | instid1(VALU_DEP_1)
	v_add_f16_e32 v72, v87, v72
	v_mul_f16_e64 v87, 0x3b76, v154
	v_fma_f16 v88, 0x35c8, v206, v87
	v_fmac_f16_e64 v87, 0xb5c8, v206
	s_delay_alu instid0(VALU_DEP_2) | instskip(SKIP_1) | instid1(VALU_DEP_3)
	v_add_f16_e32 v78, v88, v78
	v_mul_f16_e64 v88, 0xbb29, v157
	v_add_f16_e32 v73, v87, v73
	s_delay_alu instid0(VALU_DEP_2) | instskip(SKIP_1) | instid1(VALU_DEP_2)
	v_fma_f16 v91, 0x3722, v141, v88
	v_fma_f16 v81, v141, 0x3722, -v88
	v_add_f16_e32 v72, v91, v72
	v_mul_f16_e64 v91, 0xb8d2, v156
	s_delay_alu instid0(VALU_DEP_1) | instskip(SKIP_1) | instid1(VALU_DEP_2)
	v_fma_f16 v92, 0x3a62, v216, v91
	v_fmac_f16_e64 v91, 0xba62, v216
	v_add_f16_e32 v78, v92, v78
	v_mul_f16_e64 v92, 0xb1e1, v158
	s_delay_alu instid0(VALU_DEP_3) | instskip(NEXT) | instid1(VALU_DEP_2)
	v_add_f16_e32 v73, v91, v73
	v_fma_f16 v94, 0xbbdd, v143, v92
	v_fma_f16 v82, v143, 0xbbdd, -v92
	s_delay_alu instid0(VALU_DEP_2) | instskip(SKIP_1) | instid1(VALU_DEP_1)
	v_add_f16_e32 v72, v94, v72
	v_mul_f16_e64 v94, 0x3bf7, v173
	v_fma_f16 v97, 0x2de8, v144, v94
	s_delay_alu instid0(VALU_DEP_1) | instskip(SKIP_1) | instid1(VALU_DEP_1)
	v_add_f16_e32 v72, v97, v72
	v_mul_f16_e32 v97, 0xb8d2, v39
	v_fma_f16 v100, 0x3a62, v147, v97
	v_fmac_f16_e64 v97, 0xba62, v147
	s_delay_alu instid0(VALU_DEP_2) | instskip(NEXT) | instid1(VALU_DEP_1)
	v_add_f16_e32 v100, v114, v100
	v_add_f16_e32 v100, v107, v100
	v_mul_f16_e64 v107, 0xb5c8, v177
	s_delay_alu instid0(VALU_DEP_1) | instskip(NEXT) | instid1(VALU_DEP_1)
	v_fma_f16 v108, 0x3b76, v145, v107
	v_add_f16_e32 v72, v108, v72
	v_mul_f16_e64 v108, 0x3b76, v140
	s_delay_alu instid0(VALU_DEP_1) | instskip(SKIP_1) | instid1(VALU_DEP_2)
	v_fma_f16 v109, 0x35c8, v149, v108
	v_fmac_f16_e64 v108, 0xb5c8, v149
	v_add_f16_e32 v100, v109, v100
	v_mul_f16_e64 v109, 0xba62, v179
	s_delay_alu instid0(VALU_DEP_1) | instskip(SKIP_1) | instid1(VALU_DEP_2)
	v_fma_f16 v110, 0xb8d2, v146, v109
	v_fma_f16 v83, v146, 0xb8d2, -v109
	v_add_f16_e32 v72, v110, v72
	v_mul_f16_e64 v110, 0xbacd, v142
	s_delay_alu instid0(VALU_DEP_1) | instskip(SKIP_1) | instid1(VALU_DEP_2)
	v_fma_f16 v175, 0x3836, v150, v110
	v_fmac_f16_e64 v110, 0xb836, v150
	v_add_f16_e64 v100, v175, v100
	v_mul_f16_e64 v175, 0x2de8, v151
	s_delay_alu instid0(VALU_DEP_1) | instskip(SKIP_1) | instid1(VALU_DEP_2)
	v_fma_f16 v219, 0xbbf7, v200, v175
	v_fmac_f16_e64 v175, 0x3bf7, v200
	v_add_f16_e64 v100, v219, v100
	v_mul_f16_e64 v219, 0x3bb2, v152
	s_delay_alu instid0(VALU_DEP_1) | instskip(NEXT) | instid1(VALU_DEP_1)
	v_fma_f16 v223, 0xb461, v40, v219
	v_add_f16_e64 v68, v223, v68
	v_mul_f16_e64 v223, 0x39e9, v153
	s_delay_alu instid0(VALU_DEP_1) | instskip(SKIP_1) | instid1(VALU_DEP_2)
	v_fma_f16 v229, 0x3964, v202, v223
	v_fmac_f16_e64 v223, 0xb964, v202
	v_add_f16_e64 v100, v229, v100
	v_mul_f16_e64 v229, 0xb5c8, v155
	s_delay_alu instid0(VALU_DEP_1) | instskip(NEXT) | instid1(VALU_DEP_1)
	v_fma_f16 v230, 0x3b76, v139, v229
	;; [unrolled: 9-line block ×4, first 2 shown]
	v_add_f16_e64 v68, v234, v68
	v_mul_f16_e64 v234, 0xb964, v173
	s_delay_alu instid0(VALU_DEP_1) | instskip(SKIP_1) | instid1(VALU_DEP_2)
	v_fma_f16 v235, 0x39e9, v144, v234
	v_fma_f16 v80, v144, 0x39e9, -v234
	v_add_f16_e64 v68, v235, v68
	v_mul_f16_e64 v235, 0xbacd, v39
	s_delay_alu instid0(VALU_DEP_1) | instskip(SKIP_1) | instid1(VALU_DEP_2)
	v_fma_f16 v236, 0x3836, v147, v235
	v_fmac_f16_e64 v235, 0xb836, v147
	v_add_f16_e64 v236, v114, v236
	s_delay_alu instid0(VALU_DEP_1) | instskip(SKIP_1) | instid1(VALU_DEP_1)
	v_add_f16_e64 v236, v238, v236
	v_mul_f16_e64 v238, 0xb1e1, v177
	v_fma_f16 v239, 0xbbdd, v145, v238
	s_delay_alu instid0(VALU_DEP_1) | instskip(SKIP_1) | instid1(VALU_DEP_1)
	v_add_f16_e64 v68, v239, v68
	v_mul_f16_e64 v239, 0x2de8, v140
	v_fma_f16 v240, 0x3bf7, v149, v239
	v_fmac_f16_e64 v239, 0xbbf7, v149
	s_delay_alu instid0(VALU_DEP_2) | instskip(SKIP_1) | instid1(VALU_DEP_1)
	v_add_f16_e64 v236, v240, v236
	v_mul_f16_e64 v240, 0x3b29, v179
	v_fma_f16 v241, 0x3722, v146, v240
	s_delay_alu instid0(VALU_DEP_1) | instskip(SKIP_1) | instid1(VALU_DEP_1)
	v_add_f16_e64 v68, v241, v68
	v_mul_f16_e64 v241, 0xb8d2, v142
	v_fma_f16 v242, 0xba62, v150, v241
	v_fmac_f16_e64 v241, 0x3a62, v150
	s_delay_alu instid0(VALU_DEP_2) | instskip(SKIP_1) | instid1(VALU_DEP_1)
	v_add_f16_e64 v236, v242, v236
	v_mul_f16_e64 v242, 0x3b76, v151
	v_fma_f16 v243, 0x35c8, v200, v242
	v_fmac_f16_e64 v242, 0xb5c8, v200
	s_delay_alu instid0(VALU_DEP_2) | instskip(SKIP_1) | instid1(VALU_DEP_1)
	v_add_f16_e64 v236, v243, v236
	v_mul_f16_e64 v243, 0x3b29, v152
	v_fma_f16 v244, 0x3722, v40, v243
	s_delay_alu instid0(VALU_DEP_1) | instskip(SKIP_1) | instid1(VALU_DEP_1)
	v_add_f16_e64 v66, v244, v66
	v_mul_f16_e64 v244, 0xbbdd, v153
	v_fma_f16 v245, 0x31e1, v202, v244
	v_fmac_f16_e64 v244, 0xb1e1, v202
	s_delay_alu instid0(VALU_DEP_2) | instskip(SKIP_1) | instid1(VALU_DEP_1)
	v_add_f16_e64 v236, v245, v236
	v_mul_f16_e64 v245, 0xbbf7, v155
	v_fma_f16 v246, 0x2de8, v139, v245
	s_delay_alu instid0(VALU_DEP_1) | instskip(SKIP_1) | instid1(VALU_DEP_1)
	;; [unrolled: 9-line block ×4, first 2 shown]
	v_add_f16_e64 v66, v250, v66
	v_mul_f16_e64 v250, 0xb1e1, v173
	v_fma_f16 v251, 0xbbdd, v144, v250
	s_delay_alu instid0(VALU_DEP_1) | instskip(SKIP_1) | instid1(VALU_DEP_1)
	v_add_f16_e64 v66, v251, v66
	v_mul_f16_e64 v251, 0xbbdd, v39
	v_fma_f16 v252, 0x31e1, v147, v251
	v_fmac_f16_e64 v251, 0xb1e1, v147
	s_delay_alu instid0(VALU_DEP_2) | instskip(NEXT) | instid1(VALU_DEP_1)
	v_add_f16_e64 v252, v114, v252
	v_add_f16_e64 v252, v254, v252
	v_mul_f16_e64 v254, 0x3964, v177
	v_mul_f16_e64 v177, 0xbbb2, v177
	s_delay_alu instid0(VALU_DEP_2) | instskip(NEXT) | instid1(VALU_DEP_1)
	v_fma_f16 v255, 0x39e9, v145, v254
	v_add_f16_e64 v66, v255, v66
	v_mul_f16_e64 v255, 0xbacd, v140
	s_delay_alu instid0(VALU_DEP_1) | instskip(SKIP_1) | instid1(VALU_DEP_2)
	v_fma_f16 v89, 0x3836, v149, v255
	v_fmac_f16_e64 v255, 0xb836, v149
	v_add_f16_e64 v89, v89, v252
	v_mul_f16_e64 v252, 0xbbb2, v179
	v_mul_f16_e64 v179, 0x3bf7, v179
	s_delay_alu instid0(VALU_DEP_2) | instskip(NEXT) | instid1(VALU_DEP_1)
	v_fma_f16 v90, 0xb461, v146, v252
	v_add_f16_e32 v66, v90, v66
	v_mul_f16_e64 v90, 0x39e9, v142
	s_delay_alu instid0(VALU_DEP_1) | instskip(SKIP_1) | instid1(VALU_DEP_2)
	v_fma_f16 v93, 0xb964, v150, v90
	v_fmac_f16_e64 v90, 0x3964, v150
	v_add_f16_e32 v89, v93, v89
	v_mul_f16_e64 v93, 0xb8d2, v151
	s_delay_alu instid0(VALU_DEP_1) | instskip(SKIP_1) | instid1(VALU_DEP_2)
	v_fma_f16 v95, 0x3a62, v200, v93
	v_fmac_f16_e64 v93, 0xba62, v200
	v_add_f16_e32 v89, v95, v89
	v_mul_f16_e64 v95, 0x35c8, v152
	s_delay_alu instid0(VALU_DEP_1) | instskip(SKIP_1) | instid1(VALU_DEP_2)
	v_fma_f16 v152, 0x3b76, v40, v95
	v_fma_f16 v95, v40, 0x3b76, -v95
	v_add_f16_e64 v64, v152, v64
	v_mul_f16_e64 v152, 0x3722, v153
	s_delay_alu instid0(VALU_DEP_3) | instskip(SKIP_1) | instid1(VALU_DEP_3)
	v_add_f16_e32 v55, v95, v55
	v_fma_f16 v95, v145, 0xb461, -v177
	v_fma_f16 v96, 0xbb29, v202, v152
	v_fmac_f16_e64 v152, 0x3b29, v202
	s_delay_alu instid0(VALU_DEP_2) | instskip(SKIP_1) | instid1(VALU_DEP_1)
	v_add_f16_e32 v89, v96, v89
	v_mul_f16_e64 v96, 0xb836, v155
	v_fma_f16 v155, 0xbacd, v139, v96
	s_delay_alu instid0(VALU_DEP_1) | instskip(SKIP_1) | instid1(VALU_DEP_1)
	v_add_f16_e64 v64, v155, v64
	v_mul_f16_e64 v155, 0xb461, v154
	v_fma_f16 v98, 0x3bb2, v206, v155
	v_fmac_f16_e64 v155, 0xbbb2, v206
	s_delay_alu instid0(VALU_DEP_2) | instskip(SKIP_1) | instid1(VALU_DEP_1)
	v_add_f16_e32 v89, v98, v89
	v_mul_f16_e64 v98, 0x3964, v157
	v_fma_f16 v157, 0x39e9, v141, v98
	s_delay_alu instid0(VALU_DEP_1) | instskip(SKIP_1) | instid1(VALU_DEP_1)
	v_add_f16_e64 v64, v157, v64
	v_mul_f16_e64 v157, 0x2de8, v156
	;; [unrolled: 9-line block ×3, first 2 shown]
	v_fma_f16 v173, 0x3722, v144, v158
	s_delay_alu instid0(VALU_DEP_1) | instskip(SKIP_2) | instid1(VALU_DEP_2)
	v_add_f16_e64 v64, v173, v64
	v_add_f16_e64 v173, v114, v251
	v_fma_f16 v251, 0xb461, v145, v177
	v_add_f16_e64 v173, v253, v173
	s_delay_alu instid0(VALU_DEP_2) | instskip(SKIP_1) | instid1(VALU_DEP_3)
	v_add_f16_e64 v64, v251, v64
	v_fma_f16 v251, 0x2de8, v146, v179
	v_add_f16_e64 v173, v255, v173
	s_delay_alu instid0(VALU_DEP_2) | instskip(NEXT) | instid1(VALU_DEP_2)
	v_add_f16_e64 v64, v251, v64
	v_add_f16_e64 v90, v90, v173
	s_delay_alu instid0(VALU_DEP_1) | instskip(SKIP_2) | instid1(VALU_DEP_3)
	v_add_f16_e32 v90, v93, v90
	v_fma_f16 v93, v139, 0xbacd, -v96
	v_fma_f16 v96, v143, 0x3b76, -v249
	v_add_f16_e64 v90, v152, v90
	s_delay_alu instid0(VALU_DEP_3) | instskip(SKIP_1) | instid1(VALU_DEP_3)
	v_add_f16_e32 v55, v93, v55
	v_fma_f16 v93, v141, 0x39e9, -v98
	v_add_f16_e64 v90, v155, v90
	s_delay_alu instid0(VALU_DEP_2) | instskip(SKIP_1) | instid1(VALU_DEP_3)
	v_add_f16_e32 v55, v93, v55
	v_fma_f16 v93, v143, 0xb8d2, -v99
	v_add_f16_e64 v90, v157, v90
	s_delay_alu instid0(VALU_DEP_2) | instskip(SKIP_1) | instid1(VALU_DEP_1)
	v_add_f16_e32 v55, v93, v55
	v_fma_f16 v93, v144, 0x3722, -v158
	v_add_f16_e32 v55, v93, v55
	v_add_f16_e64 v93, v114, v235
	s_delay_alu instid0(VALU_DEP_2) | instskip(SKIP_1) | instid1(VALU_DEP_3)
	v_add_f16_e32 v55, v95, v55
	v_fma_f16 v95, v146, 0x2de8, -v179
	v_add_f16_e64 v93, v237, v93
	s_delay_alu instid0(VALU_DEP_2) | instskip(SKIP_1) | instid1(VALU_DEP_3)
	v_add_f16_e32 v55, v95, v55
	v_fma_f16 v95, v40, 0x3722, -v243
	;; [unrolled: 4-line block ×4, first 2 shown]
	v_add_f16_e64 v93, v242, v93
	s_delay_alu instid0(VALU_DEP_2) | instskip(SKIP_1) | instid1(VALU_DEP_3)
	v_add_f16_e32 v57, v95, v57
	v_add_f16_e32 v95, v114, v97
	v_add_f16_e64 v93, v244, v93
	s_delay_alu instid0(VALU_DEP_3) | instskip(SKIP_1) | instid1(VALU_DEP_4)
	v_add_f16_e32 v57, v96, v57
	v_fma_f16 v96, v144, 0xbbdd, -v250
	v_add_f16_e32 v95, v105, v95
	s_delay_alu instid0(VALU_DEP_4) | instskip(NEXT) | instid1(VALU_DEP_3)
	v_add_f16_e64 v93, v246, v93
	v_add_f16_e32 v57, v96, v57
	v_fma_f16 v96, v40, 0xb461, -v219
	s_delay_alu instid0(VALU_DEP_4) | instskip(NEXT) | instid1(VALU_DEP_4)
	v_add_f16_e32 v95, v108, v95
	v_add_f16_e64 v93, v248, v93
	s_delay_alu instid0(VALU_DEP_3) | instskip(SKIP_1) | instid1(VALU_DEP_4)
	v_add_f16_e32 v61, v96, v61
	v_fma_f16 v96, v145, 0x39e9, -v254
	v_add_f16_e32 v95, v110, v95
	s_delay_alu instid0(VALU_DEP_2) | instskip(SKIP_1) | instid1(VALU_DEP_3)
	v_add_f16_e32 v57, v96, v57
	v_fma_f16 v96, v139, 0x3b76, -v229
	v_add_f16_e64 v95, v175, v95
	s_delay_alu instid0(VALU_DEP_2) | instskip(SKIP_1) | instid1(VALU_DEP_3)
	v_add_f16_e32 v61, v96, v61
	v_fma_f16 v96, v141, 0xbacd, -v231
	v_add_f16_e64 v95, v223, v95
	s_delay_alu instid0(VALU_DEP_2) | instskip(SKIP_1) | instid1(VALU_DEP_3)
	v_add_f16_e32 v61, v96, v61
	v_fma_f16 v96, v143, 0x2de8, -v233
	v_add_f16_e64 v95, v230, v95
	s_delay_alu instid0(VALU_DEP_2) | instskip(NEXT) | instid1(VALU_DEP_2)
	v_add_f16_e32 v61, v96, v61
	v_add_f16_e64 v95, v232, v95
	s_delay_alu instid0(VALU_DEP_2) | instskip(SKIP_2) | instid1(VALU_DEP_2)
	v_add_f16_e32 v61, v80, v61
	v_fma_f16 v80, v40, 0xbacd, -v84
	v_mul_f16_e32 v84, 0xb8d2, v42
	v_add_f16_e32 v59, v80, v59
	v_fma_f16 v80, v145, 0xbbdd, -v238
	s_delay_alu instid0(VALU_DEP_3) | instskip(NEXT) | instid1(VALU_DEP_2)
	v_add_f16_e64 v84, v208, v84
	v_add_f16_e32 v61, v80, v61
	v_fma_f16 v80, v139, 0x39e9, -v86
	v_mul_f16_e64 v86, 0xbacd, v146
	s_delay_alu instid0(VALU_DEP_2) | instskip(SKIP_1) | instid1(VALU_DEP_3)
	v_add_f16_e32 v59, v80, v59
	v_fma_f16 v80, v146, 0x3722, -v240
	v_sub_f16_e64 v86, v86, v178
	s_delay_alu instid0(VALU_DEP_3) | instskip(NEXT) | instid1(VALU_DEP_3)
	v_add_f16_e32 v59, v81, v59
	v_add_f16_e32 v61, v80, v61
	v_mul_f16_e32 v80, 0x2de8, v39
	v_mul_f16_e32 v81, 0xbbdd, v42
	;; [unrolled: 1-line block ×3, first 2 shown]
	v_add_f16_e32 v59, v82, v59
	v_fma_f16 v82, v144, 0x2de8, -v94
	v_add_f16_e64 v80, v220, v80
	v_add_f16_e64 v81, v221, v81
	;; [unrolled: 1-line block ×3, first 2 shown]
	s_delay_alu instid0(VALU_DEP_4) | instskip(NEXT) | instid1(VALU_DEP_4)
	v_add_f16_e32 v59, v82, v59
	v_add_f16_e32 v80, v114, v80
	v_fma_f16 v82, v145, 0x3b76, -v107
	s_delay_alu instid0(VALU_DEP_2) | instskip(SKIP_1) | instid1(VALU_DEP_3)
	v_add_f16_e32 v80, v81, v80
	v_mul_f16_e64 v81, 0xb461, v140
	v_add_f16_e32 v59, v82, v59
	v_mul_f16_e32 v82, 0xbbdd, v40
	s_delay_alu instid0(VALU_DEP_3) | instskip(NEXT) | instid1(VALU_DEP_3)
	v_add_f16_e64 v81, v222, v81
	v_add_f16_e32 v59, v83, v59
	s_delay_alu instid0(VALU_DEP_3) | instskip(SKIP_1) | instid1(VALU_DEP_4)
	v_sub_f16_e64 v82, v82, v218
	v_mul_f16_e32 v83, 0x3722, v39
	v_add_f16_e32 v80, v81, v80
	v_mul_f16_e64 v81, 0x3b76, v142
	s_delay_alu instid0(VALU_DEP_4) | instskip(NEXT) | instid1(VALU_DEP_4)
	v_add_f16_e32 v48, v82, v48
	v_add_f16_e64 v83, v207, v83
	v_mul_f16_e64 v82, 0xb461, v139
	s_delay_alu instid0(VALU_DEP_4) | instskip(NEXT) | instid1(VALU_DEP_3)
	v_add_f16_e64 v81, v227, v81
	v_add_f16_e32 v83, v114, v83
	s_delay_alu instid0(VALU_DEP_3) | instskip(NEXT) | instid1(VALU_DEP_3)
	v_sub_f16_e64 v82, v82, v217
	v_add_f16_e32 v80, v81, v80
	v_mul_f16_e64 v81, 0x3722, v151
	s_delay_alu instid0(VALU_DEP_4) | instskip(NEXT) | instid1(VALU_DEP_4)
	v_add_f16_e32 v83, v84, v83
	v_add_f16_e32 v48, v82, v48
	v_mul_f16_e64 v82, 0x3b76, v141
	v_mul_f16_e64 v84, 0xbbdd, v140
	v_add_f16_e64 v81, v228, v81
	s_delay_alu instid0(VALU_DEP_3) | instskip(NEXT) | instid1(VALU_DEP_3)
	v_sub_f16_e64 v82, v82, v215
	v_add_f16_e64 v84, v205, v84
	s_delay_alu instid0(VALU_DEP_3) | instskip(SKIP_1) | instid1(VALU_DEP_4)
	v_add_f16_e32 v80, v81, v80
	v_mul_f16_e64 v81, 0xbacd, v153
	v_add_f16_e32 v48, v82, v48
	v_mul_f16_e64 v82, 0x3722, v143
	v_add_f16_e32 v83, v84, v83
	s_delay_alu instid0(VALU_DEP_4) | instskip(SKIP_1) | instid1(VALU_DEP_4)
	v_add_f16_e64 v81, v225, v81
	v_mul_f16_e64 v84, 0xb461, v142
	v_sub_f16_e64 v82, v82, v210
	s_delay_alu instid0(VALU_DEP_3) | instskip(SKIP_1) | instid1(VALU_DEP_4)
	v_add_f16_e32 v80, v81, v80
	v_mul_f16_e64 v81, 0xb8d2, v154
	v_add_f16_e64 v84, v214, v84
	s_delay_alu instid0(VALU_DEP_4) | instskip(NEXT) | instid1(VALU_DEP_3)
	v_add_f16_e32 v48, v82, v48
	v_add_f16_e64 v81, v224, v81
	s_delay_alu instid0(VALU_DEP_3) | instskip(SKIP_2) | instid1(VALU_DEP_4)
	v_add_f16_e32 v82, v84, v83
	v_mul_f16_e64 v83, 0x39e9, v151
	v_mul_f16_e32 v84, 0xb8d2, v40
	v_add_f16_e32 v80, v81, v80
	v_mul_f16_e64 v81, 0x39e9, v156
	s_delay_alu instid0(VALU_DEP_4) | instskip(NEXT) | instid1(VALU_DEP_4)
	v_add_f16_e64 v83, v213, v83
	v_sub_f16_e64 v84, v84, v199
	s_delay_alu instid0(VALU_DEP_3) | instskip(NEXT) | instid1(VALU_DEP_3)
	v_add_f16_e64 v81, v226, v81
	v_add_f16_e32 v82, v83, v82
	v_mul_f16_e64 v83, 0x3b76, v153
	s_delay_alu instid0(VALU_DEP_4) | instskip(SKIP_4) | instid1(VALU_DEP_4)
	v_add_f16_e32 v50, v84, v50
	v_mul_f16_e64 v84, 0xbbdd, v139
	v_add_f16_e32 v80, v81, v80
	v_mul_f16_e64 v81, 0xbacd, v144
	v_add_f16_e64 v83, v211, v83
	v_sub_f16_e64 v84, v84, v198
	s_delay_alu instid0(VALU_DEP_3) | instskip(NEXT) | instid1(VALU_DEP_3)
	v_sub_f16_e64 v81, v81, v204
	v_add_f16_e32 v82, v83, v82
	v_mul_f16_e64 v83, 0x2de8, v154
	s_delay_alu instid0(VALU_DEP_4) | instskip(SKIP_4) | instid1(VALU_DEP_4)
	v_add_f16_e32 v50, v84, v50
	v_mul_f16_e64 v84, 0xb461, v141
	v_add_f16_e32 v48, v81, v48
	v_mul_f16_e64 v81, 0xb8d2, v145
	v_add_f16_e64 v83, v209, v83
	v_sub_f16_e64 v84, v84, v197
	s_delay_alu instid0(VALU_DEP_3) | instskip(NEXT) | instid1(VALU_DEP_3)
	v_sub_f16_e64 v81, v81, v203
	;; [unrolled: 11-line block ×3, first 2 shown]
	v_add_f16_e32 v82, v83, v82
	v_mul_f16_e64 v83, 0x3b76, v144
	s_delay_alu instid0(VALU_DEP_4)
	v_add_f16_e32 v50, v84, v50
	v_mul_f16_e64 v84, 0xb8d2, v140
	v_add_f16_e32 v48, v81, v48
	v_mul_f16_e32 v81, 0x39e9, v39
	v_sub_f16_e64 v83, v83, v195
	v_mul_f16_e32 v39, 0x3b76, v39
	v_add_f16_e64 v84, v189, v84
	s_delay_alu instid0(VALU_DEP_4) | instskip(NEXT) | instid1(VALU_DEP_4)
	v_add_f16_e64 v81, v187, v81
	v_add_f16_e32 v50, v83, v50
	v_mul_f16_e64 v83, 0x2de8, v145
	v_add_f16_e64 v39, v169, v39
	s_delay_alu instid0(VALU_DEP_4) | instskip(NEXT) | instid1(VALU_DEP_3)
	v_add_f16_e32 v81, v114, v81
	v_sub_f16_e64 v83, v83, v193
	s_delay_alu instid0(VALU_DEP_3) | instskip(NEXT) | instid1(VALU_DEP_3)
	v_add_f16_e32 v39, v114, v39
	v_add_f16_e32 v81, v85, v81
	v_mul_f16_e32 v85, 0x2de8, v40
	s_delay_alu instid0(VALU_DEP_4)
	v_add_f16_e32 v50, v83, v50
	v_mul_f16_e64 v83, 0xbacd, v151
	v_mul_f16_e32 v40, 0x39e9, v40
	v_add_f16_e32 v81, v84, v81
	v_sub_f16_e64 v85, v85, v181
	v_mul_f16_e64 v84, 0xbbdd, v142
	v_add_f16_e64 v83, v191, v83
	v_sub_f16_e64 v40, v40, v162
	v_add_f16_e32 v39, v42, v39
	v_add_f16_e32 v53, v85, v53
	v_add_f16_e64 v84, v194, v84
	v_mul_f16_e64 v85, 0xb8d2, v139
	v_add_f16_e64 v42, v74, v132
	v_add_f16_e32 v33, v40, v33
	v_mul_f16_e64 v40, 0x3722, v139
	v_add_f16_e32 v81, v84, v81
	v_sub_f16_e64 v85, v85, v180
	v_mul_f16_e64 v84, 0xbbdd, v141
	v_add_f16_e64 v42, v42, v131
	v_sub_f16_e64 v40, v40, v163
	v_add_f16_e32 v81, v83, v81
	v_add_f16_e32 v53, v85, v53
	v_sub_f16_e64 v84, v84, v182
	v_mul_f16_e64 v83, 0xb461, v153
	v_add_f16_e32 v33, v40, v33
	v_add_f16_e32 v40, v42, v43
	v_mul_f16_e64 v43, 0x2de8, v141
	v_add_f16_e32 v53, v84, v53
	v_add_f16_e64 v83, v192, v83
	v_add_f16_e64 v84, v114, v129
	v_mul_f16_e64 v85, 0xbacd, v143
	v_sub_f16_e64 v43, v43, v159
	v_add_f16_e32 v40, v40, v41
	v_add_f16_e32 v81, v83, v81
	v_add_f16_e64 v84, v84, v130
	v_mul_f16_e64 v83, 0x3722, v154
	v_sub_f16_e64 v85, v85, v185
	v_add_f16_e32 v33, v43, v33
	v_add_f16_e32 v38, v40, v38
	v_add_f16_e64 v84, v84, v128
	v_add_f16_e64 v83, v190, v83
	v_add_f16_e32 v53, v85, v53
	v_mul_f16_e64 v85, 0xb461, v144
	v_add_f16_e32 v37, v38, v37
	v_perm_b32 v43, v113, v29, 0x5040100
	v_add_f16_e32 v81, v83, v81
	v_add_f16_e32 v83, v84, v127
	v_sub_f16_e64 v85, v85, v184
	v_mul_f16_e64 v84, 0x3722, v145
	v_add_f16_e32 v36, v37, v36
	s_delay_alu instid0(VALU_DEP_4) | instskip(NEXT) | instid1(VALU_DEP_4)
	v_add_f16_e32 v83, v83, v126
	v_add_f16_e32 v53, v85, v53
	s_delay_alu instid0(VALU_DEP_4) | instskip(SKIP_3) | instid1(VALU_DEP_4)
	v_sub_f16_e64 v84, v84, v183
	v_mul_f16_e64 v85, 0x3b76, v156
	v_add_f16_e32 v35, v36, v35
	v_add_f16_e32 v83, v83, v125
	;; [unrolled: 1-line block ×3, first 2 shown]
	s_delay_alu instid0(VALU_DEP_4) | instskip(NEXT) | instid1(VALU_DEP_4)
	v_add_f16_e64 v85, v186, v85
	v_add_f16_e32 v34, v35, v34
	s_delay_alu instid0(VALU_DEP_4) | instskip(NEXT) | instid1(VALU_DEP_1)
	v_add_f16_e32 v83, v83, v124
	v_add_f16_e32 v74, v83, v123
	v_mul_f16_e64 v83, 0x3722, v140
	s_delay_alu instid0(VALU_DEP_2) | instskip(NEXT) | instid1(VALU_DEP_2)
	v_add_f16_e32 v74, v74, v122
	v_add_f16_e64 v83, v165, v83
	s_delay_alu instid0(VALU_DEP_2) | instskip(NEXT) | instid1(VALU_DEP_2)
	v_add_f16_e32 v42, v74, v121
	v_add_f16_e32 v39, v83, v39
	v_mul_f16_e64 v83, 0x2de8, v142
	v_mul_f16_e64 v74, 0xb461, v151
	s_delay_alu instid0(VALU_DEP_4) | instskip(SKIP_1) | instid1(VALU_DEP_4)
	v_add_f16_e32 v41, v42, v120
	v_mul_f16_e64 v42, 0xb461, v143
	v_add_f16_e64 v83, v166, v83
	s_delay_alu instid0(VALU_DEP_4) | instskip(NEXT) | instid1(VALU_DEP_4)
	v_add_f16_e64 v74, v176, v74
	v_add_f16_e32 v40, v41, v119
	s_delay_alu instid0(VALU_DEP_4) | instskip(NEXT) | instid1(VALU_DEP_4)
	v_sub_f16_e64 v42, v42, v171
	v_add_f16_e32 v39, v83, v39
	v_mul_f16_e64 v41, 0xb8d2, v153
	s_delay_alu instid0(VALU_DEP_4) | instskip(NEXT) | instid1(VALU_DEP_4)
	v_add_f16_e32 v38, v40, v118
	v_add_f16_e32 v33, v42, v33
	s_delay_alu instid0(VALU_DEP_4) | instskip(NEXT) | instid1(VALU_DEP_4)
	v_add_f16_e32 v39, v74, v39
	v_add_f16_e64 v41, v174, v41
	v_mul_f16_e64 v42, 0xb8d2, v144
	v_mul_f16_e64 v40, 0xbacd, v154
	v_add_f16_e32 v37, v38, v117
	v_mul_f16_e64 v38, 0xbacd, v145
	v_add_f16_e32 v39, v41, v39
	v_sub_f16_e64 v42, v42, v167
	v_add_f16_e64 v40, v172, v40
	v_add_f16_e32 v36, v37, v116
	v_sub_f16_e64 v38, v38, v164
	v_mul_f16_e64 v37, 0xbbdd, v146
	v_add_f16_e32 v33, v42, v33
	v_add_f16_e32 v39, v40, v39
	v_mul_f16_e64 v40, 0xbbdd, v156
	v_mul_f16_e64 v41, 0x3b76, v146
	v_sub_f16_e64 v37, v37, v160
	v_add_f16_e32 v33, v38, v33
	v_add_f16_e32 v35, v36, v115
	v_add_f16_e64 v40, v168, v40
	v_sub_f16_e64 v41, v41, v161
	v_fma_f16 v38, v146, 0xb461, -v252
	v_add_f16_e32 v33, v37, v33
	v_add_f16_e32 v37, v85, v81
	;; [unrolled: 1-line block ×5, first 2 shown]
	v_pack_b32_f16 v34, v34, v35
	v_lshl_add_u32 v35, v67, 2, v75
	v_add_f16_e32 v38, v38, v57
	v_pack_b32_f16 v33, v33, v36
	v_pack_b32_f16 v36, v39, v37
	;; [unrolled: 1-line block ×6, first 2 shown]
	v_add_nc_u32_e32 v42, 0x400, v35
	ds_store_b32 v52, v34
	ds_store_2addr_b32 v35, v33, v36 offset0:52 offset1:104
	ds_store_2addr_b32 v35, v37, v39 offset0:156 offset1:208
	;; [unrolled: 1-line block ×3, first 2 shown]
	v_pack_b32_f16 v33, v38, v93
	v_pack_b32_f16 v34, v55, v90
	v_pack_b32_f16 v36, v64, v89
	v_pack_b32_f16 v37, v66, v236
	v_add_nc_u32_e32 v38, 0x600, v35
	v_pack_b32_f16 v39, v68, v100
	v_pack_b32_f16 v40, v72, v78
	v_add_nc_u32_e32 v41, 0x800, v35
	v_perm_b32 v48, v112, v30, 0x5040100
	v_perm_b32 v50, v111, v46, 0x5040100
	;; [unrolled: 1-line block ×3, first 2 shown]
	v_add_nc_u32_e32 v35, 0xc00, v35
	ds_store_2addr_b32 v42, v33, v34 offset0:108 offset1:160
	ds_store_2addr_b32 v38, v36, v37 offset0:84 offset1:136
	;; [unrolled: 1-line block ×5, first 2 shown]
.LBB0_9:
	s_wait_alu 0xfffe
	s_or_b32 exec_lo, exec_lo, s1
	s_add_nc_u64 s[8:9], s[8:9], 0xdd0
	global_wb scope:SCOPE_SE
	s_wait_dscnt 0x0
	s_barrier_signal -1
	s_barrier_wait -1
	global_inv scope:SCOPE_SE
	s_clause 0xc
	global_load_b32 v48, v[31:32], off offset:3536
	global_load_b32 v50, v76, s[8:9] offset:272
	global_load_b32 v53, v76, s[8:9] offset:544
	;; [unrolled: 1-line block ×12, first 2 shown]
	v_add_nc_u32_e32 v78, 0x200, v52
	v_lshl_add_u32 v43, v67, 2, v75
	v_add_nc_u32_e32 v39, 0x400, v52
	ds_load_2addr_b32 v[31:32], v52 offset1:68
	v_add_nc_u32_e32 v80, 0x600, v52
	ds_load_2addr_b32 v[33:34], v78 offset0:8 offset1:144
	ds_load_b32 v81, v43 offset:816
	v_add_nc_u32_e32 v40, 0x800, v52
	v_add_nc_u32_e32 v76, 0xa00, v52
	ds_load_2addr_b32 v[35:36], v39 offset0:84 offset1:152
	ds_load_2addr_b32 v[37:38], v80 offset0:92 offset1:160
	ds_load_2addr_b32 v[41:42], v40 offset0:100 offset1:168
	ds_load_2addr_b32 v[114:115], v76 offset0:108 offset1:176
	s_wait_dscnt 0x6
	v_lshrrev_b32_e32 v82, 16, v31
	v_lshrrev_b32_e32 v83, 16, v32
	s_wait_dscnt 0x4
	v_lshrrev_b32_e32 v85, 16, v81
	v_lshrrev_b32_e32 v84, 16, v33
	;; [unrolled: 1-line block ×3, first 2 shown]
	s_wait_dscnt 0x3
	v_lshrrev_b32_e32 v87, 16, v35
	v_lshrrev_b32_e32 v88, 16, v36
	s_wait_dscnt 0x2
	v_lshrrev_b32_e32 v89, 16, v37
	v_lshrrev_b32_e32 v90, 16, v38
	;; [unrolled: 3-line block ×4, first 2 shown]
	s_wait_loadcnt 0xc
	v_lshrrev_b32_e32 v95, 16, v48
	s_wait_loadcnt 0xb
	v_lshrrev_b32_e32 v96, 16, v50
	;; [unrolled: 2-line block ×13, first 2 shown]
	v_mul_f16_e32 v118, v82, v95
	v_mul_f16_e32 v95, v31, v95
	;; [unrolled: 1-line block ×20, first 2 shown]
	v_mul_f16_e64 v128, v92, v110
	v_mul_f16_e32 v110, v42, v110
	v_mul_f16_e64 v129, v93, v116
	v_mul_f16_e32 v116, v114, v116
	;; [unrolled: 2-line block ×3, first 2 shown]
	v_fma_f16 v31, v31, v48, -v118
	v_fmac_f16_e32 v95, v82, v48
	v_fma_f16 v32, v32, v50, -v119
	v_fmac_f16_e32 v96, v83, v50
	;; [unrolled: 2-line block ×13, first 2 shown]
	v_pack_b32_f16 v31, v31, v95
	v_pack_b32_f16 v32, v32, v96
	;; [unrolled: 1-line block ×13, first 2 shown]
	ds_store_2addr_b32 v52, v31, v32 offset1:68
	ds_store_b32 v43, v48 offset:816
	ds_store_2addr_b32 v78, v33, v34 offset0:8 offset1:144
	ds_store_2addr_b32 v39, v35, v36 offset0:84 offset1:152
	;; [unrolled: 1-line block ×5, first 2 shown]
	global_wb scope:SCOPE_SE
	s_wait_dscnt 0x0
	s_barrier_signal -1
	s_barrier_wait -1
	global_inv scope:SCOPE_SE
	ds_load_2addr_b32 v[31:32], v52 offset1:68
	ds_load_2addr_b32 v[33:34], v76 offset0:108 offset1:176
	ds_load_2addr_b32 v[117:118], v78 offset0:8 offset1:144
	ds_load_b32 v48, v43 offset:816
	ds_load_2addr_b32 v[35:36], v40 offset0:100 offset1:168
	ds_load_2addr_b32 v[119:120], v39 offset0:84 offset1:152
	;; [unrolled: 1-line block ×3, first 2 shown]
	global_wb scope:SCOPE_SE
	s_wait_dscnt 0x0
	s_barrier_signal -1
	s_barrier_wait -1
	global_inv scope:SCOPE_SE
	v_pk_add_f16 v50, v31, v32
	v_pk_add_f16 v41, v34, v32
	v_pk_add_f16 v32, v32, v34 neg_lo:[0,1] neg_hi:[0,1]
	v_pk_add_f16 v114, v33, v117
	v_pk_add_f16 v116, v36, v48
	;; [unrolled: 1-line block ×3, first 2 shown]
	v_pk_add_f16 v115, v48, v36 neg_lo:[0,1] neg_hi:[0,1]
	v_pk_add_f16 v42, v117, v33 neg_lo:[0,1] neg_hi:[0,1]
	v_pk_mul_f16 v68, 0xb770, v32 op_sel_hi:[0,1]
	v_lshrrev_b32_e32 v72, 16, v32
	v_pk_add_f16 v48, v50, v48
	v_lshrrev_b32_e32 v73, 16, v41
	v_pk_mul_f16 v74, 0xba95, v42 op_sel_hi:[0,1]
	v_lshrrev_b32_e32 v78, 16, v42
	v_lshrrev_b32_e32 v80, 16, v114
	v_pk_add_f16 v48, v48, v118
	v_pk_fma_f16 v50, 0x3b15, v41, v68 op_sel:[0,0,1] op_sel_hi:[0,1,0]
	v_pk_fma_f16 v68, 0x3b15, v41, v68 op_sel:[0,0,1] op_sel_hi:[0,1,0] neg_lo:[0,0,1] neg_hi:[0,0,1]
	v_mul_f16_e32 v93, 0xba95, v72
	v_mul_f16_e32 v94, 0x388b, v73
	;; [unrolled: 1-line block ×3, first 2 shown]
	v_pk_add_f16 v48, v48, v119
	v_lshrrev_b32_e32 v53, 16, v31
	v_pk_add_f16 v55, v35, v118
	v_pk_add_f16 v57, v118, v35 neg_lo:[0,1] neg_hi:[0,1]
	v_pk_mul_f16 v81, 0xbbf1, v115 op_sel_hi:[0,1]
	v_lshrrev_b32_e32 v82, 16, v115
	v_lshrrev_b32_e32 v83, 16, v116
	v_mul_f16_e32 v96, 0x2fb7, v73
	v_mul_f16_e32 v97, 0xbb7b, v72
	;; [unrolled: 1-line block ×5, first 2 shown]
	v_pk_fma_f16 v99, 0x388b, v114, v74 op_sel:[0,0,1] op_sel_hi:[0,1,0]
	v_pk_fma_f16 v74, 0x388b, v114, v74 op_sel:[0,0,1] op_sel_hi:[0,1,0] neg_lo:[0,0,1] neg_hi:[0,0,1]
	v_mul_f16_e32 v100, 0xbb7b, v78
	v_mul_f16_e32 v105, 0xb5ac, v80
	;; [unrolled: 1-line block ×3, first 2 shown]
	v_bfi_b32 v118, 0xffff, v50, v68
	v_fma_f16 v146, 0x388b, v41, v93
	v_fma_f16 v147, 0x3a95, v32, v94
	v_fma_f16 v93, v41, 0x388b, -v93
	v_fmac_f16_e32 v94, 0xba95, v32
	v_fma_f16 v148, 0x2fb7, v41, v95
	v_pk_add_f16 v48, v48, v120
	v_pk_add_f16 v59, v38, v119
	v_pk_add_f16 v61, v119, v38 neg_lo:[0,1] neg_hi:[0,1]
	v_pk_add_f16 v64, v37, v120
	v_pk_add_f16 v66, v120, v37 neg_lo:[0,1] neg_hi:[0,1]
	v_pk_mul_f16 v84, 0xbb7b, v57 op_sel_hi:[0,1]
	v_lshrrev_b32_e32 v85, 16, v57
	v_lshrrev_b32_e32 v86, 16, v55
	v_mul_f16_e32 v108, 0xbbc4, v80
	v_mul_f16_e32 v109, 0x394e, v78
	;; [unrolled: 1-line block ×5, first 2 shown]
	v_pk_fma_f16 v117, 0x2fb7, v116, v81 op_sel:[0,0,1] op_sel_hi:[0,1,0]
	v_pk_fma_f16 v81, 0x2fb7, v116, v81 op_sel:[0,0,1] op_sel_hi:[0,1,0] neg_lo:[0,0,1] neg_hi:[0,0,1]
	v_mul_f16_e32 v121, 0xb3a8, v82
	v_mul_f16_e32 v122, 0xbbc4, v83
	;; [unrolled: 1-line block ×3, first 2 shown]
	v_fma_f16 v149, 0x3bf1, v32, v96
	v_fma_f16 v95, v41, 0x2fb7, -v95
	v_fmac_f16_e32 v96, 0xbbf1, v32
	v_fma_f16 v150, 0xb5ac, v41, v97
	v_fma_f16 v151, 0x3b7b, v32, v98
	v_fmac_f16_e32 v98, 0xbb7b, v32
	v_fma_f16 v152, 0xb9fd, v41, v72
	v_fma_f16 v153, 0x394e, v32, v73
	v_fma_f16 v72, v41, 0xb9fd, -v72
	v_fmac_f16_e32 v73, 0xb94e, v32
	v_bfi_b32 v154, 0xffff, v99, v74
	v_fma_f16 v155, 0xb5ac, v114, v100
	v_fma_f16 v156, 0x3b7b, v42, v105
	v_fma_f16 v100, v114, 0xb5ac, -v100
	v_fmac_f16_e32 v105, 0xbb7b, v42
	v_fma_f16 v157, 0xbbc4, v114, v107
	v_pk_add_f16 v118, v31, v118
	v_add_f16_e64 v119, v31, v146
	v_add_f16_e64 v146, v53, v147
	v_add_f16_e32 v93, v31, v93
	v_add_f16_e32 v94, v53, v94
	v_add_f16_e64 v147, v31, v148
	v_pk_add_f16 v37, v48, v37
	v_pk_mul_f16 v87, 0xb94e, v61 op_sel_hi:[0,1]
	v_lshrrev_b32_e32 v88, 16, v61
	v_lshrrev_b32_e32 v89, 16, v59
	v_mul_f16_e32 v124, 0xb5ac, v83
	v_mul_f16_e32 v125, 0x3770, v82
	;; [unrolled: 1-line block ×5, first 2 shown]
	v_pk_fma_f16 v127, 0xb5ac, v55, v84 op_sel:[0,0,1] op_sel_hi:[0,1,0]
	v_pk_fma_f16 v84, 0xb5ac, v55, v84 op_sel:[0,0,1] op_sel_hi:[0,1,0] neg_lo:[0,0,1] neg_hi:[0,0,1]
	v_mul_f16_e64 v128, 0x394e, v85
	v_mul_f16_e64 v129, 0xb9fd, v86
	;; [unrolled: 1-line block ×3, first 2 shown]
	v_fma_f16 v158, 0x33a8, v42, v108
	v_fma_f16 v107, v114, 0xbbc4, -v107
	v_fma_f16 v161, 0x2fb7, v114, v78
	v_fma_f16 v162, 0xbbf1, v42, v80
	v_fma_f16 v78, v114, 0x2fb7, -v78
	v_fmac_f16_e32 v80, 0x3bf1, v42
	v_bfi_b32 v163, 0xffff, v117, v81
	v_fma_f16 v164, 0xbbc4, v116, v121
	v_fma_f16 v165, 0x33a8, v115, v122
	v_fma_f16 v121, v116, 0xbbc4, -v121
	v_fmac_f16_e32 v122, 0xb3a8, v115
	v_fma_f16 v166, 0xb5ac, v116, v123
	v_add_f16_e64 v148, v53, v149
	v_add_f16_e32 v95, v31, v95
	v_add_f16_e32 v96, v53, v96
	v_add_f16_e64 v149, v31, v150
	v_add_f16_e64 v150, v53, v151
	v_add_f16_e32 v98, v53, v98
	v_add_f16_e64 v151, v31, v152
	v_add_f16_e64 v152, v53, v153
	v_add_f16_e32 v72, v31, v72
	v_add_f16_e32 v53, v53, v73
	v_pk_add_f16 v73, v154, v118
	v_add_f16_e64 v118, v155, v119
	v_add_f16_e64 v119, v156, v146
	v_add_f16_e32 v93, v100, v93
	v_add_f16_e32 v94, v105, v94
	v_add_f16_e64 v100, v157, v147
	v_pk_add_f16 v37, v37, v38
	v_lshrrev_b32_e32 v91, 16, v66
	v_lshrrev_b32_e32 v92, 16, v64
	v_mul_f16_e64 v131, 0x3b15, v86
	v_mul_f16_e64 v132, 0xbbf1, v85
	v_mul_f16_e64 v133, 0x2fb7, v86
	v_mul_f16_e32 v85, 0x33a8, v85
	v_mul_f16_e32 v86, 0xbbc4, v86
	v_pk_fma_f16 v134, 0xb9fd, v59, v87 op_sel:[0,0,1] op_sel_hi:[0,1,0]
	v_pk_fma_f16 v87, 0xb9fd, v59, v87 op_sel:[0,0,1] op_sel_hi:[0,1,0] neg_lo:[0,0,1] neg_hi:[0,0,1]
	v_mul_f16_e64 v135, 0x3bf1, v88
	v_mul_f16_e64 v136, 0x2fb7, v89
	;; [unrolled: 1-line block ×3, first 2 shown]
	v_fma_f16 v97, v41, 0xb5ac, -v97
	v_fmac_f16_e32 v108, 0xb3a8, v42
	v_fma_f16 v159, 0xb9fd, v114, v109
	v_fma_f16 v167, 0xbb7b, v115, v124
	v_fma_f16 v123, v116, 0xb5ac, -v123
	v_fma_f16 v170, 0x388b, v116, v82
	v_fma_f16 v171, 0x3a95, v115, v83
	v_fma_f16 v82, v116, 0x388b, -v82
	v_fmac_f16_e32 v83, 0xba95, v115
	v_bfi_b32 v172, 0xffff, v127, v84
	v_fma_f16 v173, 0xb9fd, v55, v128
	v_fma_f16 v174, 0xb94e, v57, v129
	v_fma_f16 v128, v55, 0xb9fd, -v128
	v_fmac_f16_e64 v129, 0x394e, v57
	v_fma_f16 v175, 0x3b15, v55, v130
	v_add_f16_e64 v105, v158, v148
	v_add_f16_e32 v95, v107, v95
	v_add_f16_e32 v72, v78, v72
	;; [unrolled: 1-line block ×3, first 2 shown]
	v_pk_add_f16 v48, v163, v73
	v_add_f16_e64 v73, v164, v118
	v_add_f16_e64 v78, v165, v119
	v_add_f16_e32 v80, v121, v93
	v_add_f16_e32 v93, v122, v94
	v_add_f16_e64 v94, v166, v100
	v_pk_add_f16 v35, v37, v35
	v_mul_f16_e64 v138, 0x388b, v89
	v_mul_f16_e64 v139, 0x33a8, v88
	;; [unrolled: 1-line block ×3, first 2 shown]
	v_mul_f16_e32 v88, 0x3770, v88
	v_mul_f16_e32 v89, 0x3b15, v89
	v_mul_f16_e64 v142, 0x3770, v91
	v_mul_f16_e64 v143, 0x3b15, v92
	v_mul_f16_e64 v144, 0xb94e, v91
	v_fma_f16 v109, v114, 0xb9fd, -v109
	v_fmac_f16_e32 v124, 0x3b7b, v115
	v_fma_f16 v168, 0x3b15, v116, v125
	v_fma_f16 v176, 0xb770, v57, v131
	v_fma_f16 v130, v55, 0x3b15, -v130
	v_fma_f16 v179, 0xbbc4, v55, v85
	v_fma_f16 v180, 0xb3a8, v57, v86
	v_fma_f16 v85, v55, 0xbbc4, -v85
	v_fmac_f16_e32 v86, 0x33a8, v57
	v_bfi_b32 v181, 0xffff, v134, v87
	v_fma_f16 v182, 0x2fb7, v59, v135
	v_fma_f16 v183, 0xbbf1, v61, v136
	v_fma_f16 v135, v59, 0x2fb7, -v135
	v_fmac_f16_e64 v136, 0x3bf1, v61
	v_fma_f16 v184, 0x388b, v59, v137
	v_add_f16_e32 v97, v31, v97
	v_add_f16_e32 v96, v108, v96
	v_add_f16_e64 v107, v159, v149
	v_add_f16_e64 v100, v167, v105
	v_add_f16_e32 v95, v123, v95
	v_add_f16_e32 v72, v82, v72
	;; [unrolled: 1-line block ×3, first 2 shown]
	v_pk_add_f16 v38, v172, v48
	v_add_f16_e64 v48, v173, v73
	v_add_f16_e64 v73, v174, v78
	v_add_f16_e64 v78, v128, v80
	v_add_f16_e64 v80, v129, v93
	v_add_f16_e64 v82, v175, v94
	v_pk_add_f16 v35, v35, v36
	v_mul_f16_e64 v145, 0xb9fd, v92
	v_fma_f16 v160, 0xb94e, v42, v110
	v_fma_f16 v125, v116, 0x3b15, -v125
	v_fmac_f16_e64 v131, 0x3770, v57
	v_fma_f16 v177, 0x2fb7, v55, v132
	v_fma_f16 v185, 0x3a95, v61, v138
	v_fma_f16 v137, v59, 0x388b, -v137
	v_fma_f16 v188, 0x3b15, v59, v88
	v_fma_f16 v189, 0xb770, v61, v89
	v_fma_f16 v88, v59, 0x3b15, -v88
	v_fmac_f16_e32 v89, 0x3770, v61
	v_fma_f16 v191, 0x3b15, v64, v142
	v_fma_f16 v192, 0xb770, v66, v143
	v_fma_f16 v142, v64, 0x3b15, -v142
	v_fmac_f16_e64 v143, 0x3770, v66
	v_fma_f16 v193, 0xb9fd, v64, v144
	v_add_f16_e32 v97, v109, v97
	v_add_f16_e32 v96, v124, v96
	v_add_f16_e64 v105, v168, v107
	v_add_f16_e64 v83, v176, v100
	;; [unrolled: 1-line block ×3, first 2 shown]
	v_add_f16_e32 v72, v85, v72
	v_add_f16_e32 v53, v86, v53
	v_pk_add_f16 v37, v181, v38
	v_add_f16_e64 v38, v182, v48
	v_add_f16_e64 v48, v183, v73
	;; [unrolled: 1-line block ×5, first 2 shown]
	v_pk_add_f16 v33, v35, v33
	v_fma_f16 v169, 0xb770, v115, v126
	v_fma_f16 v132, v55, 0x2fb7, -v132
	v_fmac_f16_e64 v138, 0xba95, v61
	v_fma_f16 v186, 0xbbc4, v59, v139
	v_add_f16_e64 v108, v160, v150
	v_add_f16_e32 v97, v125, v97
	v_add_f16_e64 v94, v131, v96
	v_add_f16_e64 v95, v177, v105
	;; [unrolled: 1-line block ×4, first 2 shown]
	v_add_f16_e32 v72, v88, v72
	v_add_f16_e32 v35, v89, v53
	v_pk_add_f16 v33, v33, v34
	v_add_f16_e64 v34, v142, v73
	v_add_f16_e64 v53, v143, v78
	v_mul_f16_e32 v73, 0x3a95, v91
	v_add_f16_e64 v78, v193, v80
	v_fma_f16 v80, 0x394e, v66, v145
	v_fma_f16 v88, v64, 0xb9fd, -v144
	v_fma_f16 v178, 0x3bf1, v57, v133
	v_fma_f16 v139, v59, 0xbbc4, -v139
	v_add_f16_e64 v107, v169, v108
	v_add_f16_e64 v97, v132, v97
	;; [unrolled: 1-line block ×4, first 2 shown]
	v_fmac_f16_e64 v145, 0xb94e, v66
	v_fmamk_f16 v89, v64, 0x388b, v73
	v_add_f16_e32 v80, v80, v82
	v_add_f16_e32 v82, v88, v83
	v_mul_f16_e32 v88, 0xbb7b, v91
	v_fma_f16 v187, 0xb3a8, v61, v140
	v_add_f16_e64 v109, v161, v151
	v_add_f16_e64 v96, v178, v107
	;; [unrolled: 1-line block ×3, first 2 shown]
	v_mul_f16_e32 v97, 0x388b, v92
	v_add_f16_e64 v83, v145, v85
	v_add_f16_e32 v85, v89, v86
	v_mul_f16_e32 v89, 0xb5ac, v92
	v_fmamk_f16 v91, v64, 0xb5ac, v88
	v_fma_f16 v88, v64, 0xb5ac, -v88
	v_pk_mul_f16 v41, 0xbbc4, v41 op_sel_hi:[0,1]
	v_add_f16_e64 v108, v170, v109
	v_add_f16_e64 v93, v187, v96
	v_fmamk_f16 v86, v66, 0xba95, v97
	v_fmamk_f16 v92, v66, 0x3b7b, v89
	v_fmac_f16_e32 v89, 0xbb7b, v66
	v_add_f16_e32 v72, v88, v72
	v_pk_fma_f16 v88, 0xb3a8, v32, v41 op_sel:[0,0,1] op_sel_hi:[0,1,0]
	v_add_f16_e64 v100, v179, v108
	v_add_f16_e32 v86, v86, v93
	v_add_f16_e32 v35, v89, v35
	v_pk_mul_f16 v89, 0x3b15, v114 op_sel_hi:[0,1]
	v_alignbit_b32 v93, s0, v88, 16
	v_add_f16_e64 v95, v188, v100
	v_fma_f16 v73, v64, 0x388b, -v73
	v_pack_b32_f16 v78, v78, v80
	v_pk_fma_f16 v32, 0xb3a8, v32, v41 op_sel:[0,0,1] op_sel_hi:[0,1,0] neg_lo:[0,1,0] neg_hi:[0,1,0]
	v_pk_fma_f16 v41, 0x3770, v42, v89 op_sel:[0,0,1] op_sel_hi:[0,1,0]
	v_pk_add_f16 v80, v31, v93
	v_pk_mul_f16 v93, 0xb9fd, v116 op_sel_hi:[0,1]
	v_fmac_f16_e32 v110, 0x394e, v42
	v_add_f16_e32 v73, v73, v94
	v_add_f16_e32 v91, v91, v95
	v_alignbit_b32 v94, s0, v31, 16
	v_pk_add_f16 v32, v31, v32 op_sel:[1,0] op_sel_hi:[0,1]
	v_alignbit_b32 v95, s0, v41, 16
	v_pk_fma_f16 v42, 0x3770, v42, v89 op_sel:[0,0,1] op_sel_hi:[0,1,0] neg_lo:[0,1,0] neg_hi:[0,1,0]
	v_pk_fma_f16 v89, 0xb94e, v115, v93 op_sel:[0,0,1] op_sel_hi:[0,1,0]
	v_pk_mul_f16 v55, 0x388b, v55 op_sel_hi:[0,1]
	v_pk_add_f16 v88, v94, v88
	v_pk_add_f16 v80, v95, v80
	;; [unrolled: 1-line block ×3, first 2 shown]
	v_alignbit_b32 v42, s0, v89, 16
	v_pk_fma_f16 v93, 0xb94e, v115, v93 op_sel:[0,0,1] op_sel_hi:[0,1,0] neg_lo:[0,1,0] neg_hi:[0,1,0]
	v_pk_fma_f16 v94, 0x3a95, v57, v55 op_sel:[0,0,1] op_sel_hi:[0,1,0]
	v_pk_mul_f16 v59, 0xb5ac, v59 op_sel_hi:[0,1]
	v_pk_mul_f16 v90, 0xb3a8, v66 op_sel_hi:[0,1]
	v_fmac_f16_e64 v133, 0xbbf1, v57
	v_pk_add_f16 v41, v41, v88
	v_pk_add_f16 v42, v42, v80
	v_pk_add_f16 v32, v93, v32
	v_alignbit_b32 v80, s0, v94, 16
	v_pk_fma_f16 v55, 0x3a95, v57, v55 op_sel:[0,0,1] op_sel_hi:[0,1,0] neg_lo:[0,1,0] neg_hi:[0,1,0]
	v_pk_fma_f16 v57, 0xbb7b, v61, v59 op_sel:[0,0,1] op_sel_hi:[0,1,0]
	v_bfi_b32 v50, 0xffff, v68, v50
	v_add_f16_e32 v98, v110, v98
	v_add_f16_e64 v110, v162, v152
	v_fmac_f16_e32 v126, 0x3770, v115
	v_pk_fma_f16 v141, 0xbbc4, v64, v90 op_sel:[0,0,1] op_sel_hi:[0,1,0]
	v_pk_fma_f16 v90, 0xbbc4, v64, v90 op_sel:[0,0,1] op_sel_hi:[0,1,0] neg_lo:[0,0,1] neg_hi:[0,0,1]
	v_pk_add_f16 v41, v89, v41
	v_pk_add_f16 v42, v80, v42
	;; [unrolled: 1-line block ×3, first 2 shown]
	v_alignbit_b32 v55, s0, v57, 16
	v_pk_mul_f16 v64, 0x2fb7, v64 op_sel_hi:[0,1]
	v_pk_add_f16 v31, v31, v50
	v_bfi_b32 v50, 0xffff, v74, v99
	v_add_f16_e64 v109, v171, v110
	v_add_f16_e32 v98, v126, v98
	v_pk_add_f16 v41, v94, v41
	v_pk_fma_f16 v59, 0xbb7b, v61, v59 op_sel:[0,0,1] op_sel_hi:[0,1,0] neg_lo:[0,1,0] neg_hi:[0,1,0]
	v_pk_add_f16 v42, v55, v42
	v_pk_fma_f16 v55, 0x3bf1, v66, v64 op_sel:[0,0,1] op_sel_hi:[0,1,0]
	v_pk_add_f16 v31, v50, v31
	v_bfi_b32 v50, 0xffff, v81, v117
	v_add_f16_e64 v105, v180, v109
	v_fmac_f16_e64 v140, 0x33a8, v61
	v_add_f16_e64 v98, v133, v98
	v_add_f16_e64 v38, v191, v38
	;; [unrolled: 1-line block ×3, first 2 shown]
	v_pk_add_f16 v32, v59, v32
	v_pk_add_f16 v41, v57, v41
	v_alignbit_b32 v57, s0, v55, 16
	v_pk_fma_f16 v59, 0x3bf1, v66, v64 op_sel:[0,0,1] op_sel_hi:[0,1,0] neg_lo:[0,1,0] neg_hi:[0,1,0]
	v_pk_add_f16 v31, v50, v31
	v_bfi_b32 v50, 0xffff, v84, v127
	v_add_f16_e64 v96, v189, v105
	v_add_f16_e64 v36, v140, v98
	v_fmac_f16_e32 v97, 0x3a95, v66
	v_bfi_b32 v190, 0xffff, v141, v90
	v_pack_b32_f16 v38, v38, v48
	v_pk_add_f16 v42, v57, v42
	v_pk_add_f16 v32, v59, v32
	;; [unrolled: 1-line block ×4, first 2 shown]
	v_bfi_b32 v48, 0xffff, v87, v134
	v_add_f16_e32 v92, v92, v96
	v_add_f16_e32 v36, v97, v36
	v_pk_add_f16 v37, v190, v37
	v_alignbit_b32 v41, v41, v32, 16
	v_pack_b32_f16 v32, v42, v32
	v_pk_add_f16 v31, v48, v31
	v_bfi_b32 v42, 0xffff, v90, v141
	v_pack_b32_f16 v50, v91, v92
	v_pack_b32_f16 v55, v85, v86
	;; [unrolled: 1-line block ×6, first 2 shown]
	v_pk_add_f16 v114, v42, v31
	ds_store_2addr_b32 v77, v33, v37 offset1:1
	ds_store_2addr_b32 v77, v38, v78 offset0:2 offset1:3
	ds_store_2addr_b32 v77, v55, v50 offset0:4 offset1:5
	;; [unrolled: 1-line block ×5, first 2 shown]
	ds_store_b32 v77, v114 offset:48
	global_wb scope:SCOPE_SE
	s_wait_dscnt 0x0
	s_barrier_signal -1
	s_barrier_wait -1
	global_inv scope:SCOPE_SE
	ds_load_2addr_b32 v[33:34], v52 offset1:68
	ds_load_2addr_b32 v[31:32], v52 offset0:136 offset1:221
	ds_load_2addr_b32 v[41:42], v39 offset0:186 offset1:254
	;; [unrolled: 1-line block ×5, first 2 shown]
	v_lshrrev_b32_e32 v77, 16, v114
	s_and_saveexec_b32 s1, vcc_lo
	s_cbranch_execz .LBB0_11
; %bb.10:
	v_add_nc_u32_e32 v29, 0x680, v52
	ds_load_b32 v114, v43 offset:816
	ds_load_2addr_b32 v[29:30], v29 offset0:9 offset1:230
	ds_load_b32 v46, v52 offset:3468
	s_wait_dscnt 0x2
	v_lshrrev_b32_e32 v77, 16, v114
	s_wait_dscnt 0x1
	v_lshrrev_b32_e32 v113, 16, v29
	v_lshrrev_b32_e32 v112, 16, v30
	s_wait_dscnt 0x0
	v_lshrrev_b32_e32 v111, 16, v46
.LBB0_11:
	s_wait_alu 0xfffe
	s_or_b32 exec_lo, exec_lo, s1
	s_wait_dscnt 0x4
	v_lshrrev_b32_e32 v50, 16, v32
	s_wait_dscnt 0x3
	v_lshrrev_b32_e32 v53, 16, v41
	;; [unrolled: 2-line block ×3, first 2 shown]
	v_lshrrev_b32_e32 v61, 16, v42
	v_mul_f16_e32 v76, v106, v32
	v_mul_f16_e32 v74, v106, v50
	s_wait_dscnt 0x1
	v_lshrrev_b32_e32 v59, 16, v39
	v_mul_f16_e32 v78, v104, v53
	v_mul_f16_e32 v80, v104, v41
	;; [unrolled: 1-line block ×3, first 2 shown]
	v_fmac_f16_e32 v74, v25, v32
	v_fma_f16 v25, v25, v50, -v76
	v_mul_f16_e32 v50, v101, v61
	v_lshrrev_b32_e32 v68, 16, v40
	v_fmac_f16_e32 v78, v26, v41
	v_fma_f16 v26, v26, v53, -v80
	v_fmac_f16_e32 v81, v27, v38
	v_mul_f16_e32 v32, v102, v38
	v_mul_f16_e32 v38, v103, v59
	;; [unrolled: 1-line block ×4, first 2 shown]
	v_fmac_f16_e32 v50, v23, v42
	v_lshrrev_b32_e32 v42, 16, v19
	s_wait_dscnt 0x0
	v_lshrrev_b32_e32 v64, 16, v35
	v_fmac_f16_e32 v38, v22, v39
	v_fma_f16 v22, v22, v59, -v41
	v_lshrrev_b32_e32 v39, 16, v24
	v_mul_f16_e32 v41, v42, v68
	v_lshrrev_b32_e32 v72, 16, v37
	v_fma_f16 v27, v27, v55, -v32
	v_mul_f16_e32 v42, v42, v40
	v_mul_f16_e32 v32, v39, v64
	;; [unrolled: 1-line block ×3, first 2 shown]
	v_lshrrev_b32_e32 v55, 16, v20
	v_fmac_f16_e32 v41, v19, v40
	v_lshrrev_b32_e32 v40, 16, v16
	v_lshrrev_b32_e32 v73, 16, v36
	v_fma_f16 v23, v23, v61, -v53
	v_mul_f16_e32 v53, v55, v72
	v_fmac_f16_e32 v32, v24, v35
	v_fma_f16 v24, v24, v64, -v39
	v_mul_f16_e32 v35, v55, v37
	v_lshrrev_b32_e32 v39, 16, v21
	v_mul_f16_e32 v55, v40, v113
	v_mul_f16_e32 v40, v40, v29
	v_fmac_f16_e32 v53, v20, v37
	v_lshrrev_b32_e32 v48, 16, v33
	v_mul_f16_e32 v37, v39, v73
	v_fmac_f16_e32 v55, v16, v29
	v_fma_f16 v29, v16, v113, -v40
	v_lshrrev_b32_e32 v40, 16, v17
	v_mul_f16_e32 v39, v39, v36
	v_fmac_f16_e32 v37, v21, v36
	v_fma_f16 v19, v19, v68, -v42
	v_fma_f16 v42, v20, v72, -v35
	v_mul_f16_e32 v36, v40, v112
	v_sub_f16_e32 v20, v33, v78
	v_sub_f16_e32 v35, v48, v26
	;; [unrolled: 1-line block ×3, first 2 shown]
	global_wb scope:SCOPE_SE
	v_fmac_f16_e32 v36, v17, v30
	v_mul_f16_e32 v30, v40, v30
	v_lshrrev_b32_e32 v40, 16, v18
	v_fma_f16 v16, v33, 2.0, -v20
	v_fma_f16 v33, v48, 2.0, -v35
	;; [unrolled: 1-line block ×3, first 2 shown]
	s_barrier_signal -1
	v_mul_f16_e32 v59, v40, v46
	v_mul_f16_e32 v48, v40, v111
	s_barrier_wait -1
	v_sub_f16_e32 v40, v33, v25
	v_fma_f16 v25, v17, v112, -v30
	v_fma_f16 v30, v18, v111, -v59
	global_inv scope:SCOPE_SE
	scratch_load_b32 v59, off, off offset:12 th:TH_LOAD_LU ; 4-byte Folded Reload
	v_lshrrev_b32_e32 v57, 16, v34
	v_fmac_f16_e32 v48, v18, v46
	v_sub_f16_e32 v18, v34, v50
	v_sub_f16_e32 v32, v38, v32
	v_lshrrev_b32_e32 v66, 16, v31
	v_fma_f16 v21, v21, v73, -v39
	v_sub_f16_e32 v39, v74, v81
	v_add_f16_e32 v27, v20, v27
	v_sub_f16_e32 v50, v57, v23
	v_sub_f16_e32 v23, v22, v24
	v_fma_f16 v24, v34, 2.0, -v18
	v_fma_f16 v34, v38, 2.0, -v32
	;; [unrolled: 1-line block ×3, first 2 shown]
	v_sub_f16_e32 v89, v35, v39
	v_fma_f16 v38, v57, 2.0, -v50
	v_fma_f16 v22, v22, 2.0, -v23
	;; [unrolled: 1-line block ×3, first 2 shown]
	v_sub_f16_e32 v20, v24, v34
	v_sub_f16_e32 v34, v31, v53
	;; [unrolled: 1-line block ×7, first 2 shown]
	v_fma_f16 v32, v66, 2.0, -v39
	v_fma_f16 v19, v19, 2.0, -v53
	v_sub_f16_e32 v26, v16, v26
	v_fma_f16 v22, v24, 2.0, -v20
	v_fma_f16 v24, v41, 2.0, -v37
	;; [unrolled: 1-line block ×3, first 2 shown]
	v_sub_f16_e32 v99, v32, v19
	v_sub_f16_e32 v36, v114, v36
	;; [unrolled: 1-line block ×4, first 2 shown]
	v_fma_f16 v16, v16, 2.0, -v26
	v_fma_f16 v33, v33, 2.0, -v40
	;; [unrolled: 1-line block ×3, first 2 shown]
	v_add_f16_e32 v25, v34, v53
	v_fma_f16 v53, v77, 2.0, -v38
	v_fma_f16 v77, v32, 2.0, -v99
	v_add_f16_e32 v32, v36, v30
	v_fma_f16 v31, v31, 2.0, -v34
	v_fma_f16 v42, v50, 2.0, -v46
	;; [unrolled: 1-line block ×6, first 2 shown]
	v_pack_b32_f16 v34, v16, v33
	v_pack_b32_f16 v36, v17, v35
	v_add_f16_e32 v21, v18, v23
	v_sub_f16_e32 v48, v55, v48
	v_sub_f16_e32 v24, v31, v24
	;; [unrolled: 1-line block ×3, first 2 shown]
	v_pack_b32_f16 v37, v22, v41
	v_fma_f16 v23, v18, 2.0, -v21
	v_sub_f16_e32 v95, v38, v48
	v_fma_f16 v18, v31, 2.0, -v24
	v_fma_f16 v31, v55, 2.0, -v48
	;; [unrolled: 1-line block ×3, first 2 shown]
	v_pack_b32_f16 v39, v20, v76
	v_fma_f16 v102, v38, 2.0, -v95
	v_pack_b32_f16 v38, v23, v42
	v_pack_b32_f16 v48, v21, v46
	v_sub_f16_e32 v31, v50, v31
	v_sub_f16_e32 v98, v53, v29
	v_pack_b32_f16 v55, v24, v99
	v_pack_b32_f16 v57, v25, v101
	s_delay_alu instid0(VALU_DEP_4) | instskip(NEXT) | instid1(VALU_DEP_4)
	v_fma_f16 v29, v50, 2.0, -v31
	v_fma_f16 v90, v53, 2.0, -v98
	v_pack_b32_f16 v50, v18, v77
	v_pack_b32_f16 v53, v19, v96
	s_wait_loadcnt 0x0
	ds_store_2addr_b32 v59, v34, v36 offset1:13
	v_pack_b32_f16 v34, v26, v40
	v_pack_b32_f16 v36, v27, v89
	ds_store_2addr_b32 v59, v34, v36 offset0:26 offset1:39
	scratch_load_b32 v34, off, off offset:8 th:TH_LOAD_LU ; 4-byte Folded Reload
	s_wait_loadcnt 0x0
	ds_store_2addr_b32 v34, v37, v38 offset1:13
	ds_store_2addr_b32 v34, v39, v48 offset0:26 offset1:39
	scratch_load_b32 v34, off, off offset:4 th:TH_LOAD_LU ; 4-byte Folded Reload
	s_wait_loadcnt 0x0
	ds_store_2addr_b32 v34, v50, v53 offset1:13
	ds_store_2addr_b32 v34, v55, v57 offset0:26 offset1:39
	s_and_saveexec_b32 s1, vcc_lo
	s_cbranch_execz .LBB0_13
; %bb.12:
	scratch_load_b32 v34, off, off th:TH_LOAD_LU ; 4-byte Folded Reload
	v_perm_b32 v36, v90, v29, 0x5040100
	v_perm_b32 v37, v102, v30, 0x5040100
	;; [unrolled: 1-line block ×4, first 2 shown]
	s_wait_loadcnt 0x0
	v_mad_u16 v34, v34, 52, v79
	s_delay_alu instid0(VALU_DEP_1) | instskip(NEXT) | instid1(VALU_DEP_1)
	v_and_b32_e32 v34, 0xffff, v34
	v_lshl_add_u32 v34, v34, 2, v75
	ds_store_2addr_b32 v34, v36, v37 offset1:13
	ds_store_2addr_b32 v34, v38, v39 offset0:26 offset1:39
.LBB0_13:
	s_wait_alu 0xfffe
	s_or_b32 exec_lo, exec_lo, s1
	global_wb scope:SCOPE_SE
	s_wait_dscnt 0x0
	s_barrier_signal -1
	s_barrier_wait -1
	global_inv scope:SCOPE_SE
	s_and_saveexec_b32 s1, s0
	s_cbranch_execz .LBB0_15
; %bb.14:
	v_add_nc_u32_e32 v19, 0x400, v52
	v_add_nc_u32_e32 v29, 0x800, v52
	;; [unrolled: 1-line block ×4, first 2 shown]
	ds_load_2addr_b32 v[16:17], v52 offset1:52
	ds_load_2addr_b32 v[26:27], v52 offset0:104 offset1:156
	ds_load_2addr_b32 v[22:23], v18 offset0:80 offset1:132
	;; [unrolled: 1-line block ×7, first 2 shown]
	ds_load_b32 v44, v52 offset:3328
	s_wait_dscnt 0x8
	v_lshrrev_b32_e32 v33, 16, v16
	v_lshrrev_b32_e32 v35, 16, v17
	s_wait_dscnt 0x7
	v_lshrrev_b32_e32 v40, 16, v26
	v_lshrrev_b32_e32 v89, 16, v27
	;; [unrolled: 3-line block ×8, first 2 shown]
	s_wait_dscnt 0x0
	v_lshrrev_b32_e32 v45, 16, v44
.LBB0_15:
	s_wait_alu 0xfffe
	s_or_b32 exec_lo, exec_lo, s1
	s_and_saveexec_b32 s1, s0
	s_cbranch_execz .LBB0_17
; %bb.16:
	v_lshrrev_b32_e32 v38, 16, v15
	v_lshrrev_b32_e32 v36, 16, v8
	;; [unrolled: 1-line block ×5, first 2 shown]
	v_mul_f16_e32 v34, v38, v45
	v_mul_f16_e32 v37, v36, v35
	v_mul_f16_e32 v38, v38, v44
	v_mul_f16_e32 v39, v36, v17
	v_lshrrev_b32_e32 v55, 16, v7
	v_fmac_f16_e32 v34, v15, v44
	v_lshrrev_b32_e32 v44, 16, v9
	v_fmac_f16_e32 v37, v8, v17
	v_mul_f16_e32 v17, v48, v95
	v_fma_f16 v15, v15, v45, -v38
	v_fma_f16 v38, v8, v35, -v39
	v_mul_f16_e32 v36, v44, v40
	v_sub_f16_e32 v35, v37, v34
	v_mul_f16_e32 v8, v48, v32
	v_fmac_f16_e32 v17, v14, v32
	v_mul_f16_e32 v44, v44, v26
	v_fmac_f16_e32 v36, v9, v26
	v_lshrrev_b32_e32 v48, 16, v10
	v_add_f16_e32 v75, v15, v38
	v_mul_f16_e32 v93, 0xb964, v35
	v_mul_f16_e32 v26, v50, v98
	v_sub_f16_e32 v32, v36, v17
	v_mul_f16_e32 v39, v48, v89
	v_fma_f16 v8, v14, v95, -v8
	v_fma_f16 v40, v9, v40, -v44
	v_fmamk_f16 v45, v75, 0x39e9, v93
	v_fmac_f16_e32 v26, v13, v31
	v_fmac_f16_e32 v39, v10, v27
	v_mul_f16_e32 v9, v50, v31
	v_mul_f16_e32 v27, v48, v27
	;; [unrolled: 1-line block ×3, first 2 shown]
	v_add_f16_e32 v78, v8, v40
	v_lshrrev_b32_e32 v50, 16, v11
	v_lshrrev_b32_e32 v48, 16, v12
	v_sub_f16_e32 v14, v39, v26
	v_fma_f16 v9, v13, v98, -v9
	v_fma_f16 v27, v10, v89, -v27
	v_add_f16_e32 v13, v33, v45
	v_fmamk_f16 v44, v78, 0x2de8, v95
	v_mul_f16_e32 v31, v50, v41
	v_mul_f16_e32 v10, v48, v102
	;; [unrolled: 1-line block ×3, first 2 shown]
	v_add_f16_e32 v79, v9, v27
	v_add_f16_e32 v44, v44, v13
	v_fmac_f16_e32 v31, v11, v22
	v_fmac_f16_e32 v10, v12, v30
	v_mul_f16_e32 v48, v48, v30
	v_mul_f16_e32 v50, v50, v22
	;; [unrolled: 1-line block ×4, first 2 shown]
	v_fmamk_f16 v45, v79, 0xb8d2, v98
	v_sub_f16_e32 v22, v31, v10
	v_fma_f16 v12, v12, v102, -v48
	v_fma_f16 v41, v11, v41, -v50
	v_fmac_f16_e32 v30, v0, v23
	v_fmac_f16_e32 v13, v7, v29
	v_mul_f16_e32 v29, v55, v29
	v_mul_f16_e32 v23, v53, v23
	;; [unrolled: 1-line block ×3, first 2 shown]
	v_add_f16_e32 v89, v12, v41
	v_lshrrev_b32_e32 v50, 16, v1
	v_fma_f16 v7, v7, v90, -v29
	v_fma_f16 v29, v0, v42, -v23
	v_add_f16_e32 v23, v45, v44
	v_lshrrev_b32_e32 v45, 16, v6
	v_fmamk_f16 v44, v89, 0xbbdd, v104
	v_mul_f16_e32 v42, v50, v76
	v_lshrrev_b32_e32 v53, 16, v2
	v_lshrrev_b32_e32 v55, 16, v5
	v_mul_f16_e32 v0, v45, v101
	v_sub_f16_e32 v11, v30, v13
	v_add_f16_e32 v44, v44, v23
	v_fmac_f16_e32 v42, v1, v20
	v_mul_f16_e32 v45, v45, v25
	v_fmac_f16_e32 v0, v6, v25
	v_mul_f16_e32 v50, v50, v20
	v_mul_f16_e32 v25, v53, v46
	;; [unrolled: 1-line block ×4, first 2 shown]
	v_add_f16_e32 v90, v7, v29
	v_sub_f16_e32 v20, v42, v0
	v_fma_f16 v6, v6, v101, -v45
	v_fma_f16 v45, v1, v76, -v50
	v_fmac_f16_e32 v25, v2, v21
	v_fmac_f16_e32 v23, v5, v24
	v_mul_f16_e32 v24, v55, v24
	v_mul_f16_e32 v21, v53, v21
	v_fmamk_f16 v48, v90, 0xbacd, v102
	v_mul_f16_e32 v105, 0x3bb2, v20
	v_add_f16_e32 v94, v6, v45
	v_sub_f16_e32 v1, v25, v23
	v_fma_f16 v5, v5, v99, -v24
	v_fma_f16 v46, v2, v46, -v21
	v_add_f16_e32 v2, v48, v44
	v_fmamk_f16 v21, v94, 0xb461, v105
	v_mul_f16_e32 v103, 0x3b29, v1
	v_sub_f16_e32 v99, v38, v15
	v_add_f16_e32 v81, v5, v46
	v_sub_f16_e32 v101, v40, v8
	v_add_f16_e32 v2, v21, v2
	v_add_f16_e32 v21, v34, v37
	v_mul_f16_e32 v113, 0xb964, v99
	v_fmamk_f16 v24, v81, 0x3722, v103
	v_lshrrev_b32_e32 v55, 16, v4
	v_mul_f16_e32 v107, 0xbbf7, v101
	v_sub_f16_e32 v86, v27, v9
	v_lshrrev_b32_e32 v57, 16, v3
	v_add_f16_e32 v48, v24, v2
	v_fma_f16 v2, v21, 0x39e9, -v113
	v_add_f16_e32 v24, v17, v36
	v_mul_f16_e32 v76, v55, v96
	v_add_f16_e32 v44, v26, v39
	v_mul_f16_e32 v108, 0xba62, v86
	v_add_f16_e32 v50, v16, v2
	v_fma_f16 v53, v24, 0x2de8, -v107
	v_sub_f16_e32 v87, v41, v12
	v_mul_f16_e32 v80, v57, v77
	v_fmac_f16_e32 v76, v4, v19
	v_mul_f16_e32 v55, v55, v19
	v_add_f16_e32 v50, v53, v50
	v_fma_f16 v53, v44, 0xb8d2, -v108
	v_add_f16_e32 v19, v10, v31
	v_mul_f16_e32 v110, 0xb1e1, v87
	v_sub_f16_e32 v88, v29, v7
	v_fmac_f16_e32 v80, v3, v18
	v_fma_f16 v84, v4, v96, -v55
	v_mul_f16_e32 v18, v57, v18
	v_add_f16_e32 v50, v53, v50
	v_fma_f16 v53, v19, 0xbbdd, -v110
	v_add_f16_e32 v4, v13, v30
	v_mul_f16_e32 v112, 0x3836, v88
	v_fma_f16 v85, v3, v77, -v18
	v_sub_f16_e32 v91, v45, v6
	v_add_f16_e32 v3, v53, v50
	v_mul_f16_e64 v128, 0xbb29, v35
	v_fma_f16 v50, v4, 0xbacd, -v112
	v_sub_f16_e32 v2, v80, v76
	v_add_f16_e32 v18, v0, v42
	v_mul_f16_e32 v115, 0x3bb2, v91
	v_sub_f16_e32 v97, v46, v5
	v_add_f16_e32 v3, v50, v3
	v_fma_f16 v50, 0x3722, v75, v128
	v_mul_f16_e64 v129, 0xba62, v32
	v_mul_f16_e32 v109, 0x35c8, v2
	v_add_f16_e32 v96, v84, v85
	v_fma_f16 v53, v18, 0xb461, -v115
	v_add_f16_e32 v77, v23, v25
	v_mul_f16_e32 v114, 0x3b29, v97
	v_add_f16_e32 v50, v33, v50
	v_fma_f16 v55, 0xb8d2, v78, v129
	v_mul_f16_e32 v123, 0x31e1, v14
	v_fmamk_f16 v57, v96, 0x3b76, v109
	v_add_f16_e32 v53, v53, v3
	v_fma_f16 v59, v77, 0x3722, -v114
	v_add_f16_e32 v50, v55, v50
	v_fmamk_f16 v55, v79, 0xbbdd, v123
	v_mul_f16_e32 v124, 0x3bb2, v22
	v_add_f16_e32 v3, v57, v48
	v_add_f16_e32 v48, v59, v53
	v_mul_f16_e32 v122, 0x3964, v11
	v_add_f16_e32 v50, v55, v50
	v_fmamk_f16 v53, v89, 0xb461, v124
	v_mul_f16_e64 v134, 0xbb29, v99
	v_sub_f16_e32 v100, v85, v84
	v_mul_f16_e32 v120, 0xb5c8, v20
	v_mul_f16_e64 v135, 0xba62, v101
	v_add_f16_e32 v50, v53, v50
	v_fmamk_f16 v53, v90, 0x39e9, v122
	v_fma_f16 v55, v21, 0x3722, -v134
	v_add_f16_e32 v82, v76, v80
	v_mul_f16_e32 v117, 0x35c8, v100
	v_mul_f16_e32 v121, 0xbbf7, v1
	v_add_f16_e32 v50, v53, v50
	v_fmamk_f16 v53, v94, 0x3b76, v120
	v_add_f16_e32 v55, v16, v55
	v_fma_f16 v57, v24, 0xb8d2, -v135
	v_mul_f16_e32 v125, 0x31e1, v86
	v_fma_f16 v59, v82, 0x3b76, -v117
	v_add_f16_e32 v50, v53, v50
	v_fmamk_f16 v53, v81, 0x2de8, v121
	v_add_f16_e32 v55, v57, v55
	v_fma_f16 v57, v44, 0xbbdd, -v125
	v_mul_f16_e32 v126, 0x3bb2, v87
	v_mul_f16_e64 v145, 0xbbf7, v35
	v_add_f16_e32 v83, v59, v48
	v_add_f16_e32 v48, v53, v50
	;; [unrolled: 1-line block ×3, first 2 shown]
	v_fma_f16 v53, v19, 0xb461, -v126
	v_mul_f16_e64 v133, 0x3964, v88
	v_fma_f16 v55, 0x2de8, v75, v145
	v_mul_f16_e64 v146, 0xb1e1, v32
	v_mul_f16_e64 v136, 0xb5c8, v91
	v_add_f16_e32 v50, v53, v50
	v_fma_f16 v53, v4, 0x39e9, -v133
	v_add_f16_e32 v55, v33, v55
	v_fma_f16 v57, 0xbbdd, v78, v146
	v_mul_f16_e64 v149, 0x3bb2, v14
	v_mul_f16_e64 v132, 0xb836, v2
	v_add_f16_e32 v50, v53, v50
	v_fma_f16 v53, v18, 0x3b76, -v136
	v_mul_f16_e64 v130, 0xbbf7, v97
	v_add_f16_e32 v55, v57, v55
	v_fma_f16 v57, 0xb461, v79, v149
	v_mul_f16_e64 v140, 0x35c8, v22
	v_fma_f16 v59, 0xbacd, v96, v132
	v_add_f16_e32 v50, v53, v50
	v_fma_f16 v53, v77, 0x2de8, -v130
	v_add_f16_e32 v55, v57, v55
	v_fma_f16 v57, 0x3b76, v89, v140
	v_mul_f16_e64 v141, 0xbb29, v11
	v_mul_f16_e64 v151, 0xbbf7, v99
	v_add_f16_e32 v92, v59, v48
	v_add_f16_e32 v48, v53, v50
	;; [unrolled: 1-line block ×3, first 2 shown]
	v_fma_f16 v53, 0x3722, v90, v141
	v_mul_f16_e64 v147, 0xb836, v20
	v_fma_f16 v55, v21, 0x2de8, -v151
	v_mul_f16_e64 v152, 0xb1e1, v101
	v_mul_f16_e64 v131, 0xb836, v100
	v_add_f16_e32 v50, v53, v50
	v_fma_f16 v53, 0xbacd, v94, v147
	v_mul_f16_e64 v148, 0x3a62, v1
	v_add_f16_e32 v55, v16, v55
	v_fma_f16 v57, v24, 0xbbdd, -v152
	v_mul_f16_e64 v153, 0x3bb2, v86
	v_fma_f16 v59, v82, 0xbacd, -v131
	v_add_f16_e32 v50, v53, v50
	v_fma_f16 v53, 0xb8d2, v81, v148
	v_add_f16_e32 v55, v57, v55
	v_fma_f16 v57, v44, 0xb461, -v153
	v_mul_f16_e64 v142, 0x35c8, v87
	v_add_f16_e32 v106, v59, v48
	v_add_f16_e32 v48, v53, v50
	v_mul_f16_e32 v50, 0xbbb2, v35
	v_add_f16_e32 v53, v57, v55
	v_fma_f16 v55, v19, 0x3b76, -v142
	v_mul_f16_e64 v154, 0xbb29, v88
	v_mul_f16_e32 v59, 0x3836, v32
	v_fmamk_f16 v57, v75, 0xb461, v50
	v_mul_f16_e64 v143, 0xb836, v91
	v_add_f16_e32 v53, v55, v53
	v_fma_f16 v55, v4, 0x3722, -v154
	v_mul_f16_e64 v155, 0x3964, v2
	v_add_f16_e32 v57, v33, v57
	v_fmamk_f16 v61, v78, 0xbacd, v59
	v_mul_f16_e32 v64, 0x3964, v14
	v_add_f16_e32 v53, v55, v53
	v_fma_f16 v55, v18, 0xbacd, -v143
	v_mul_f16_e64 v144, 0x3a62, v97
	v_add_f16_e32 v57, v61, v57
	v_fmamk_f16 v61, v79, 0x39e9, v64
	v_mul_f16_e32 v66, 0xbb29, v22
	v_fma_f16 v68, 0x39e9, v96, v155
	v_add_f16_e32 v53, v55, v53
	v_fma_f16 v55, v77, 0xb8d2, -v144
	v_add_f16_e32 v57, v61, v57
	v_fmamk_f16 v61, v89, 0x3722, v66
	v_mul_f16_e32 v72, 0xb1e1, v11
	v_add_f16_e32 v111, v68, v48
	v_add_f16_e32 v48, v55, v53
	v_mul_f16_e32 v53, 0xbbb2, v99
	v_add_f16_e32 v55, v61, v57
	v_fmamk_f16 v57, v90, 0xbbdd, v72
	v_mul_f16_e32 v61, 0x3bf7, v20
	v_mul_f16_e64 v162, 0x3836, v101
	v_fma_f16 v68, v21, 0xb461, -v53
	v_mul_f16_e64 v156, 0x3964, v100
	v_add_f16_e32 v55, v57, v55
	v_fmamk_f16 v57, v94, 0x2de8, v61
	v_mul_f16_e64 v160, 0xb5c8, v1
	v_add_f16_e32 v68, v16, v68
	v_fma_f16 v73, v24, 0xbacd, -v162
	v_mul_f16_e64 v163, 0x3964, v86
	v_fma_f16 v74, v82, 0x39e9, -v156
	v_add_f16_e32 v55, v57, v55
	v_fma_f16 v57, 0x3b76, v81, v160
	v_add_f16_e32 v68, v73, v68
	v_fma_f16 v73, v44, 0x39e9, -v163
	v_mul_f16_e64 v164, 0xbb29, v87
	v_add_f16_e32 v116, v74, v48
	v_add_f16_e32 v48, v57, v55
	v_mul_f16_e32 v55, 0xba62, v35
	v_add_f16_e32 v57, v73, v68
	v_fma_f16 v68, v19, 0x3722, -v164
	v_mul_f16_e64 v165, 0xb1e1, v88
	v_mul_f16_e64 v161, 0x3bb2, v32
	v_fmamk_f16 v74, v75, 0xb8d2, v55
	v_mul_f16_e64 v166, 0x3bf7, v91
	v_add_f16_e32 v57, v68, v57
	v_fma_f16 v68, v4, 0xbbdd, -v165
	v_mul_f16_e32 v73, 0xba62, v2
	v_add_f16_e32 v74, v33, v74
	v_fma_f16 v118, 0xb461, v78, v161
	v_mul_f16_e64 v168, 0xb5c8, v14
	v_add_f16_e32 v57, v68, v57
	v_fma_f16 v68, v18, 0x2de8, -v166
	v_mul_f16_e64 v167, 0xb5c8, v97
	v_add_f16_e32 v74, v118, v74
	v_fma_f16 v118, 0x3b76, v79, v168
	v_mul_f16_e64 v169, 0xb836, v22
	v_fmamk_f16 v119, v96, 0xb8d2, v73
	v_add_f16_e32 v57, v68, v57
	v_fma_f16 v68, v77, 0x3b76, -v167
	v_add_f16_e32 v74, v118, v74
	v_fma_f16 v127, 0xbacd, v89, v169
	v_mul_f16_e64 v170, 0x3bf7, v11
	v_add_f16_e32 v118, v119, v48
	v_add_f16_e32 v48, v68, v57
	v_mul_f16_e32 v57, 0xba62, v99
	v_add_f16_e32 v68, v127, v74
	v_fma_f16 v74, 0x2de8, v90, v170
	v_mul_f16_e64 v171, 0xb964, v20
	v_mul_f16_e64 v173, 0x3bb2, v101
	v_fma_f16 v119, v21, 0xb8d2, -v57
	v_mul_f16_e64 v172, 0xba62, v100
	v_add_f16_e32 v68, v74, v68
	v_fma_f16 v74, 0x39e9, v94, v171
	v_mul_f16_e64 v174, 0xb1e1, v1
	v_add_f16_e32 v119, v16, v119
	v_fma_f16 v127, v24, 0xb461, -v173
	v_mul_f16_e64 v175, 0xb5c8, v86
	v_fma_f16 v137, v82, 0xb8d2, -v172
	v_add_f16_e32 v68, v74, v68
	v_fma_f16 v74, 0xbbdd, v81, v174
	v_add_f16_e32 v127, v127, v119
	v_fma_f16 v138, v44, 0x3b76, -v175
	v_mul_f16_e64 v176, 0xb836, v87
	v_add_f16_e64 v119, v137, v48
	v_add_f16_e32 v48, v74, v68
	v_mul_f16_e32 v68, 0xb836, v35
	v_add_f16_e64 v74, v138, v127
	v_fma_f16 v127, v19, 0xbacd, -v176
	v_mul_f16_e64 v177, 0x3bf7, v88
	v_mul_f16_e64 v158, 0x3b29, v32
	v_fma_f16 v137, 0xbacd, v75, v68
	v_mul_f16_e64 v179, 0xb964, v91
	v_add_f16_e32 v74, v127, v74
	v_fma_f16 v127, v4, 0x2de8, -v177
	v_mul_f16_e64 v178, 0x3b29, v2
	v_add_f16_e64 v137, v33, v137
	v_fma_f16 v138, 0x3722, v78, v158
	v_mul_f16_e64 v159, 0xbbf7, v14
	v_add_f16_e32 v74, v127, v74
	v_fma_f16 v127, v18, 0x39e9, -v179
	v_mul_f16_e64 v180, 0xb1e1, v97
	v_add_f16_e64 v137, v138, v137
	v_fma_f16 v138, 0x2de8, v79, v159
	v_mul_f16_e64 v181, 0x3a62, v22
	v_fma_f16 v139, 0x3722, v96, v178
	v_add_f16_e32 v74, v127, v74
	v_fma_f16 v150, v77, 0xbbdd, -v180
	v_add_f16_e64 v137, v138, v137
	v_fma_f16 v138, 0xb8d2, v89, v181
	v_mul_f16_e64 v182, 0xb5c8, v11
	v_add_f16_e64 v127, v139, v48
	v_add_f16_e64 v48, v150, v74
	v_mul_f16_e32 v74, 0xb836, v99
	v_add_f16_e64 v137, v138, v137
	v_fma_f16 v138, 0x3b76, v90, v182
	v_mul_f16_e64 v183, 0xb1e1, v20
	v_mul_f16_e64 v184, 0x3b29, v100
	v_fma_f16 v139, v21, 0xbacd, -v74
	v_mul_f16_e64 v185, 0x3b29, v101
	v_add_f16_e64 v137, v138, v137
	v_fma_f16 v138, 0xbbdd, v94, v183
	v_mul_f16_e64 v186, 0x3964, v1
	v_add_f16_e64 v139, v16, v139
	v_fma_f16 v150, v24, 0x3722, -v185
	v_mul_f16_e64 v187, 0xbbf7, v86
	v_fma_f16 v157, v82, 0x3722, -v184
	v_add_f16_e64 v138, v138, v137
	v_fma_f16 v188, 0x39e9, v81, v186
	v_add_f16_e64 v139, v150, v139
	v_fma_f16 v150, v44, 0x2de8, -v187
	v_mul_f16_e64 v189, 0x3a62, v87
	v_add_f16_e64 v137, v157, v48
	v_mul_f16_e64 v157, 0xb1e1, v35
	v_add_f16_e64 v48, v188, v138
	v_add_f16_e64 v138, v150, v139
	v_fma_f16 v139, v19, 0xb8d2, -v189
	v_mul_f16_e64 v188, 0xb5c8, v88
	v_fma_f16 v150, 0xbbdd, v75, v157
	v_mul_f16_e64 v191, 0x35c8, v32
	v_mul_f16_e64 v192, 0xb1e1, v91
	v_add_f16_e64 v138, v139, v138
	v_fma_f16 v139, v4, 0x3b76, -v188
	v_add_f16_e64 v150, v33, v150
	v_fma_f16 v193, 0x3b76, v78, v191
	v_mul_f16_e64 v194, 0xb836, v14
	v_mul_f16_e64 v190, 0xbbb2, v2
	v_add_f16_e64 v138, v139, v138
	v_fma_f16 v139, v18, 0xbbdd, -v192
	v_mul_f16_e64 v195, 0x3964, v97
	v_add_f16_e64 v150, v193, v150
	v_fma_f16 v193, 0xbacd, v79, v194
	v_mul_f16_e64 v196, 0x3964, v22
	v_fma_f16 v197, 0xb461, v96, v190
	v_add_f16_e64 v139, v139, v138
	v_fma_f16 v198, v77, 0x39e9, -v195
	v_add_f16_e64 v150, v193, v150
	v_fma_f16 v193, 0x39e9, v89, v196
	v_mul_f16_e64 v199, 0xba62, v11
	v_add_f16_e64 v138, v197, v48
	v_add_f16_e64 v48, v198, v139
	v_mul_f16_e64 v198, 0xbbb2, v100
	v_add_f16_e64 v139, v193, v150
	v_fma_f16 v150, 0xb8d2, v90, v199
	v_mul_f16_e64 v193, 0x3b29, v20
	v_mul_f16_e64 v202, 0xbbb2, v1
	v_fma_f16 v205, v82, 0xb461, -v198
	v_fma_f16 v191, v78, 0x3b76, -v191
	v_add_f16_e64 v139, v150, v139
	v_fma_f16 v150, 0x3722, v94, v193
	v_fma_f16 v206, 0xb461, v81, v202
	v_fma_f16 v194, v79, 0xbacd, -v194
	v_fma_f16 v68, v75, 0xbacd, -v68
	v_fma_f16 v158, v78, 0x3722, -v158
	v_add_f16_e64 v150, v150, v139
	v_add_f16_e64 v139, v205, v48
	v_mul_f16_e64 v205, 0x3bf7, v2
	v_add_f16_e32 v68, v33, v68
	v_fma_f16 v159, v79, 0x2de8, -v159
	v_add_f16_e64 v48, v206, v150
	v_fma_f16 v150, v75, 0xbbdd, -v157
	v_fma_f16 v208, 0x2de8, v96, v205
	v_add_f16_e64 v68, v158, v68
	v_fma_f16 v55, v75, 0xb8d2, -v55
	v_fma_f16 v50, v75, 0xb461, -v50
	v_add_f16_e64 v150, v33, v150
	v_fma_f16 v59, v78, 0xbacd, -v59
	v_fmac_f16_e32 v74, 0xbacd, v21
	v_add_f16_e32 v55, v33, v55
	v_add_f16_e32 v50, v33, v50
	v_add_f16_e64 v191, v191, v150
	v_add_f16_e64 v150, v208, v48
	v_add_f16_e32 v74, v16, v74
	v_fmac_f16_e64 v185, 0x3722, v24
	v_add_f16_e32 v50, v59, v50
	v_add_f16_e64 v48, v194, v191
	v_fma_f16 v191, v89, 0x39e9, -v196
	v_fma_f16 v59, v79, 0x39e9, -v64
	v_fma_f16 v64, v75, 0x3722, -v128
	v_add_f16_e64 v74, v185, v74
	v_fmac_f16_e64 v187, 0x2de8, v44
	v_add_f16_e64 v48, v191, v48
	v_fma_f16 v191, v90, 0xb8d2, -v199
	v_add_f16_e32 v50, v59, v50
	v_fma_f16 v59, v89, 0x3722, -v66
	v_add_f16_e32 v64, v33, v64
	v_fma_f16 v66, v78, 0xb8d2, -v129
	v_add_f16_e64 v48, v191, v48
	v_fma_f16 v191, v94, 0x3722, -v193
	v_add_f16_e32 v50, v59, v50
	v_fma_f16 v59, v75, 0x2de8, -v145
	v_add_f16_e64 v74, v187, v74
	v_fmac_f16_e64 v189, 0xb8d2, v19
	v_add_f16_e64 v48, v191, v48
	v_fma_f16 v191, v81, 0xb461, -v202
	v_add_f16_e32 v59, v33, v59
	v_add_f16_e32 v37, v16, v37
	;; [unrolled: 1-line block ×3, first 2 shown]
	v_add_f16_e64 v74, v189, v74
	v_add_f16_e64 v48, v191, v48
	v_fma_f16 v191, v96, 0x2de8, -v205
	v_fmac_f16_e64 v188, 0x3b76, v4
	v_add_f16_e32 v36, v36, v37
	v_add_f16_e32 v37, v40, v38
	v_fmac_f16_e64 v192, 0xbbdd, v18
	v_add_f16_e64 v158, v191, v48
	v_add_f16_e64 v48, v159, v68
	v_fma_f16 v68, v89, 0xb8d2, -v181
	v_fma_f16 v181, v78, 0xb461, -v161
	v_add_f16_e64 v74, v188, v74
	v_add_f16_e32 v36, v39, v36
	v_add_f16_e32 v27, v27, v37
	;; [unrolled: 1-line block ×3, first 2 shown]
	v_fma_f16 v68, v90, 0x3b76, -v182
	v_mul_f16_e64 v197, 0xb1e1, v99
	v_add_f16_e32 v31, v31, v36
	v_add_f16_e32 v27, v41, v27
	v_fmac_f16_e32 v113, 0x39e9, v21
	v_add_f16_e32 v48, v68, v48
	v_fma_f16 v68, v94, 0xbbdd, -v183
	v_add_f16_e32 v30, v30, v31
	v_add_f16_e32 v27, v29, v27
	v_fmac_f16_e64 v151, 0x2de8, v21
	v_fmac_f16_e64 v134, 0x3722, v21
	v_add_f16_e32 v48, v68, v48
	v_fma_f16 v68, v81, 0x39e9, -v186
	v_add_f16_e32 v30, v42, v30
	v_add_f16_e32 v27, v45, v27
	v_fmac_f16_e32 v57, 0xb8d2, v21
	v_fmac_f16_e32 v53, 0xb461, v21
	v_add_f16_e32 v48, v68, v48
	v_fma_f16 v68, v96, 0xb461, -v190
	v_add_f16_e32 v25, v25, v30
	v_add_f16_e32 v27, v46, v27
	v_fma_f16 v200, v21, 0xbbdd, -v197
	v_mul_f16_e64 v201, 0x35c8, v101
	v_add_f16_e64 v161, v68, v48
	v_add_f16_e64 v48, v181, v55
	v_fma_f16 v55, v79, 0x3b76, -v168
	v_add_f16_e64 v68, v192, v74
	v_fma_f16 v74, v94, 0xb461, -v105
	v_add_f16_e32 v25, v80, v25
	v_add_f16_e32 v27, v85, v27
	;; [unrolled: 1-line block ×3, first 2 shown]
	v_fma_f16 v55, v89, 0xbacd, -v169
	v_fmac_f16_e64 v197, 0xbbdd, v21
	v_add_f16_e32 v25, v76, v25
	v_add_f16_e32 v27, v84, v27
	v_mul_f16_e64 v204, 0xb836, v86
	v_add_f16_e32 v48, v55, v48
	v_fma_f16 v55, v90, 0x2de8, -v170
	v_fmac_f16_e32 v107, 0x2de8, v24
	v_mul_f16_e32 v86, 0xbb29, v86
	v_fmac_f16_e64 v152, 0xbbdd, v24
	v_fmac_f16_e64 v135, 0xb8d2, v24
	v_add_f16_e32 v48, v55, v48
	v_fma_f16 v55, v94, 0x39e9, -v171
	v_add_f16_e32 v57, v16, v57
	v_fmac_f16_e64 v173, 0xb461, v24
	v_add_f16_e32 v53, v16, v53
	v_fmac_f16_e64 v162, 0xbacd, v24
	v_add_f16_e32 v48, v55, v48
	v_fma_f16 v55, v81, 0xbbdd, -v174
	v_add_f16_e64 v200, v16, v200
	v_fma_f16 v203, v24, 0x3b76, -v201
	v_add_f16_e64 v197, v16, v197
	v_fmac_f16_e64 v201, 0x3b76, v24
	v_add_f16_e32 v48, v55, v48
	v_fma_f16 v55, v96, 0x3722, -v178
	v_add_f16_e32 v23, v23, v25
	v_add_f16_e32 v5, v5, v27
	v_fmac_f16_e32 v108, 0xb8d2, v44
	v_fmamk_f16 v38, v44, 0x3722, v86
	v_add_f16_e32 v48, v55, v48
	v_fma_f16 v55, v90, 0xbbdd, -v72
	v_fma_f16 v72, v75, 0x39e9, -v93
	;; [unrolled: 1-line block ×3, first 2 shown]
	v_mul_f16_e32 v40, 0xbbf7, v87
	v_fmac_f16_e64 v153, 0xb461, v44
	v_add_f16_e32 v50, v55, v50
	v_fma_f16 v55, v94, 0x2de8, -v61
	v_fma_f16 v61, v78, 0xbbdd, -v146
	v_add_f16_e32 v72, v33, v72
	v_fmac_f16_e32 v125, 0xbbdd, v44
	v_add_f16_e64 v57, v173, v57
	v_add_f16_e32 v50, v55, v50
	v_fma_f16 v55, v81, 0x3b76, -v160
	v_add_f16_e32 v59, v61, v59
	v_fma_f16 v61, v79, 0xb461, -v149
	v_fmac_f16_e64 v175, 0x3b76, v44
	v_add_f16_e64 v53, v162, v53
	v_add_f16_e32 v50, v55, v50
	v_fma_f16 v55, v96, 0xb8d2, -v73
	v_fma_f16 v73, v78, 0x2de8, -v95
	v_mul_f16_e32 v78, 0x39e9, v78
	v_mul_f16_e32 v95, 0xb5c8, v99
	;; [unrolled: 1-line block ×3, first 2 shown]
	v_add_f16_e32 v50, v55, v50
	v_add_f16_e32 v55, v61, v59
	v_fma_f16 v59, v89, 0x3b76, -v140
	v_add_f16_e32 v72, v73, v72
	v_fma_f16 v73, v79, 0xb8d2, -v98
	v_fmamk_f16 v98, v21, 0x3b76, v95
	v_add_f16_e64 v61, v16, v151
	v_add_f16_e32 v55, v59, v55
	v_fma_f16 v59, v90, 0x3722, -v141
	v_add_f16_e32 v72, v73, v72
	v_fma_f16 v73, v89, 0xbbdd, -v104
	v_fma_f16 v21, v21, 0x3b76, -v95
	v_add_f16_e64 v61, v152, v61
	v_add_f16_e32 v55, v59, v55
	v_fma_f16 v59, v94, 0xbacd, -v147
	v_fmac_f16_e64 v163, 0x39e9, v44
	v_add_f16_e64 v200, v203, v200
	v_fma_f16 v203, v44, 0xbacd, -v204
	v_mul_f16_e64 v207, 0x3964, v87
	v_add_f16_e32 v55, v59, v55
	v_fma_f16 v59, v81, 0xb8d2, -v148
	v_add_f16_e64 v193, v201, v197
	v_fmac_f16_e64 v204, 0xbacd, v44
	v_add_f16_e32 v0, v0, v23
	v_add_f16_e32 v5, v6, v5
	;; [unrolled: 1-line block ×3, first 2 shown]
	v_fma_f16 v59, v96, 0x39e9, -v155
	v_fmac_f16_e32 v110, 0xbbdd, v19
	v_mul_f16_e32 v39, 0xbbb2, v88
	v_add_f16_e64 v61, v153, v61
	v_fmac_f16_e64 v142, 0x3b76, v19
	v_add_f16_e32 v55, v59, v55
	v_add_f16_e32 v59, v66, v64
	v_fma_f16 v64, v79, 0xbbdd, -v123
	v_mul_f16_e32 v79, 0x3722, v79
	v_add_f16_e64 v66, v16, v134
	v_fmac_f16_e32 v126, 0xb461, v19
	v_add_f16_e64 v57, v175, v57
	v_add_f16_e32 v59, v64, v59
	v_fma_f16 v64, v89, 0xb461, -v124
	v_mul_f16_e32 v89, 0x2de8, v89
	v_add_f16_e64 v66, v135, v66
	v_fmac_f16_e64 v176, 0xbacd, v19
	v_add_f16_e64 v53, v163, v53
	v_add_f16_e32 v59, v64, v59
	v_fma_f16 v64, v90, 0x39e9, -v122
	v_add_f16_e32 v66, v125, v66
	v_fmac_f16_e64 v164, 0x3722, v19
	v_add_f16_e64 v157, v203, v200
	v_fma_f16 v200, v19, 0x39e9, -v207
	v_add_f16_e32 v59, v64, v59
	v_fma_f16 v64, v94, 0x3b76, -v120
	v_mul_f16_e32 v94, 0xb8d2, v94
	v_mul_f16_e64 v203, 0xba62, v88
	v_add_f16_e64 v193, v204, v193
	v_fmac_f16_e64 v207, 0x39e9, v19
	v_add_f16_e32 v59, v64, v59
	v_fma_f16 v64, v81, 0x2de8, -v121
	v_add_f16_e32 v0, v13, v0
	v_add_f16_e32 v5, v7, v5
	v_fmac_f16_e32 v112, 0xbacd, v4
	v_mul_f16_e32 v29, 0xba62, v91
	v_add_f16_e32 v59, v64, v59
	v_fma_f16 v64, v96, 0xbacd, -v132
	v_add_f16_e64 v61, v142, v61
	v_fmac_f16_e64 v154, 0x3722, v4
	v_add_f16_e32 v66, v126, v66
	v_fmac_f16_e64 v133, 0x39e9, v4
	v_add_f16_e32 v59, v64, v59
	v_add_f16_e32 v64, v73, v72
	v_fma_f16 v72, v90, 0xbacd, -v102
	v_mul_f16_e32 v90, 0xb461, v90
	v_add_f16_e32 v73, v16, v113
	v_add_f16_e64 v57, v176, v57
	v_fmac_f16_e64 v177, 0x2de8, v4
	v_add_f16_e32 v64, v72, v64
	v_mul_f16_e32 v72, 0x3b76, v75
	v_add_f16_e32 v73, v107, v73
	v_add_f16_e64 v53, v164, v53
	v_fmac_f16_e64 v165, 0xbbdd, v4
	v_add_f16_e32 v64, v74, v64
	v_fmamk_f16 v75, v35, 0x35c8, v72
	v_fmac_f16_e32 v72, 0xb5c8, v35
	v_add_f16_e32 v73, v108, v73
	v_add_f16_e64 v157, v200, v157
	v_add_f16_e32 v64, v93, v64
	v_add_f16_e32 v74, v33, v75
	v_fmamk_f16 v75, v32, 0x3964, v78
	v_fma_f16 v93, v96, 0x3b76, -v109
	v_add_f16_e32 v33, v33, v72
	v_fmac_f16_e32 v78, 0xb964, v32
	v_add_f16_e32 v73, v110, v73
	v_add_f16_e32 v74, v75, v74
	v_fmamk_f16 v75, v14, 0x3b29, v79
	v_add_f16_e32 v64, v93, v64
	v_fmamk_f16 v93, v24, 0x39e9, v99
	v_fmac_f16_e32 v79, 0xbb29, v14
	v_add_f16_e32 v14, v16, v21
	v_add_f16_e32 v74, v75, v74
	v_fmamk_f16 v75, v22, 0x3bf7, v89
	v_add_f16_e32 v25, v78, v33
	v_fmac_f16_e32 v89, 0xbbf7, v22
	v_fma_f16 v200, v4, 0xb8d2, -v203
	v_mul_f16_e64 v206, 0x3b29, v91
	v_add_f16_e32 v74, v75, v74
	v_fmamk_f16 v75, v11, 0x3bb2, v90
	v_add_f16_e32 v6, v79, v25
	v_fmac_f16_e32 v90, 0xbbb2, v11
	v_fma_f16 v11, v19, 0x2de8, -v40
	v_add_f16_e64 v193, v207, v193
	v_add_f16_e32 v74, v75, v74
	v_fmamk_f16 v75, v20, 0x3a62, v94
	v_fmac_f16_e64 v203, 0xb8d2, v4
	v_add_f16_e32 v0, v10, v0
	v_add_f16_e32 v5, v12, v5
	;; [unrolled: 1-line block ×5, first 2 shown]
	v_fma_f16 v16, v24, 0x39e9, -v99
	v_fmac_f16_e32 v115, 0xb461, v18
	v_mul_f16_e32 v81, 0xbacd, v81
	v_mul_f16_e32 v41, 0xb836, v97
	v_add_f16_e32 v75, v93, v75
	v_add_f16_e32 v14, v16, v14
	v_fma_f16 v16, v44, 0x3722, -v86
	v_add_f16_e64 v61, v154, v61
	v_fmac_f16_e64 v143, 0xbacd, v18
	v_add_f16_e32 v37, v38, v75
	v_fmamk_f16 v38, v19, 0x2de8, v40
	v_add_f16_e32 v7, v16, v14
	v_add_f16_e64 v66, v133, v66
	v_fmac_f16_e64 v136, 0x3b76, v18
	v_add_f16_e64 v57, v177, v57
	v_add_f16_e32 v37, v38, v37
	v_fmamk_f16 v38, v4, 0xb461, v39
	v_fmac_f16_e64 v179, 0x39e9, v18
	v_add_f16_e64 v53, v165, v53
	v_fmac_f16_e64 v166, 0x2de8, v18
	v_add_f16_e32 v6, v89, v6
	v_add_f16_e32 v37, v38, v37
	v_fmamk_f16 v38, v18, 0xb8d2, v29
	v_add_f16_e32 v7, v11, v7
	v_fma_f16 v4, v4, 0xb461, -v39
	v_add_f16_e64 v157, v200, v157
	v_fma_f16 v200, v18, 0x3722, -v206
	v_mul_f16_e64 v209, 0xbbb2, v97
	v_add_f16_e64 v159, v203, v193
	v_fmac_f16_e64 v206, 0x3722, v18
	v_add_f16_e32 v0, v26, v0
	v_add_f16_e32 v5, v9, v5
	;; [unrolled: 1-line block ×3, first 2 shown]
	v_fmac_f16_e32 v114, 0x3722, v77
	v_fmamk_f16 v87, v1, 0x3836, v81
	v_mul_f16_e32 v31, 0xbbdd, v96
	v_add_f16_e32 v30, v38, v37
	v_fmamk_f16 v37, v77, 0xbacd, v41
	v_mul_f16_e32 v35, 0xb1e1, v100
	v_add_f16_e64 v61, v143, v61
	v_fmac_f16_e64 v144, 0xb8d2, v77
	v_add_f16_e64 v66, v136, v66
	v_fmac_f16_e64 v130, 0x2de8, v77
	;; [unrolled: 2-line block ×4, first 2 shown]
	v_add_f16_e32 v6, v90, v6
	v_fmac_f16_e32 v94, 0xba62, v20
	v_fmac_f16_e32 v81, 0xb836, v1
	v_add_f16_e32 v1, v4, v7
	v_fma_f16 v4, v18, 0xb8d2, -v29
	v_add_f16_e64 v157, v200, v157
	v_fma_f16 v194, v77, 0xb461, -v209
	v_mul_f16_e64 v196, 0x3bf7, v100
	v_add_f16_e64 v159, v206, v159
	v_fmac_f16_e64 v209, 0xb461, v77
	v_fmac_f16_e64 v195, 0x39e9, v77
	v_add_f16_e32 v0, v17, v0
	v_add_f16_e32 v5, v8, v5
	;; [unrolled: 1-line block ×3, first 2 shown]
	v_fmac_f16_e32 v117, 0x3b76, v82
	v_add_f16_e32 v36, v87, v74
	v_fmamk_f16 v42, v2, 0x31e1, v31
	v_add_f16_e32 v30, v37, v30
	v_fmamk_f16 v32, v82, 0xbbdd, v35
	v_add_f16_e64 v61, v144, v61
	v_fmac_f16_e64 v156, 0x39e9, v82
	v_add_f16_e64 v66, v130, v66
	v_fmac_f16_e64 v131, 0xbacd, v82
	;; [unrolled: 2-line block ×4, first 2 shown]
	v_add_f16_e32 v6, v94, v6
	v_fmac_f16_e32 v31, 0xb1e1, v2
	v_add_f16_e32 v1, v4, v1
	v_fma_f16 v2, v77, 0xbacd, -v41
	v_add_f16_e64 v157, v194, v157
	v_fma_f16 v194, v82, 0x2de8, -v196
	v_add_f16_e64 v159, v209, v159
	v_fmac_f16_e64 v196, 0x2de8, v82
	v_add_f16_e64 v68, v195, v68
	v_fmac_f16_e64 v198, 0xb461, v82
	v_add_f16_e32 v0, v34, v0
	v_add_f16_e32 v4, v15, v5
	v_add_f16_e32 v73, v117, v73
	v_add_f16_e32 v36, v42, v36
	v_add_f16_e32 v5, v32, v30
	v_add_f16_e64 v61, v156, v61
	v_add_f16_e64 v66, v131, v66
	;; [unrolled: 1-line block ×4, first 2 shown]
	v_add_f16_e32 v6, v81, v6
	v_add_f16_e32 v1, v2, v1
	v_fma_f16 v2, v82, 0xbbdd, -v35
	v_add_f16_e64 v159, v196, v159
	v_add_f16_e64 v68, v198, v68
	v_pack_b32_f16 v0, v0, v4
	v_add_f16_e64 v157, v194, v157
	v_pack_b32_f16 v4, v5, v36
	v_pack_b32_f16 v5, v73, v64
	;; [unrolled: 1-line block ×6, first 2 shown]
	v_add_nc_u32_e32 v11, 0x400, v43
	v_add_f16_e32 v6, v31, v6
	v_add_f16_e32 v1, v2, v1
	ds_store_b32 v52, v0
	ds_store_2addr_b32 v43, v4, v5 offset0:52 offset1:104
	ds_store_2addr_b32 v43, v7, v8 offset0:156 offset1:208
	;; [unrolled: 1-line block ×3, first 2 shown]
	v_pack_b32_f16 v0, v68, v161
	v_pack_b32_f16 v2, v159, v158
	;; [unrolled: 1-line block ×4, first 2 shown]
	v_add_nc_u32_e32 v7, 0x600, v43
	v_pack_b32_f16 v8, v137, v127
	v_pack_b32_f16 v9, v119, v118
	v_add_nc_u32_e32 v10, 0x800, v43
	v_pack_b32_f16 v12, v116, v111
	v_pack_b32_f16 v13, v106, v92
	;; [unrolled: 1-line block ×4, first 2 shown]
	v_add_nc_u32_e32 v6, 0xc00, v43
	ds_store_2addr_b32 v11, v0, v2 offset0:108 offset1:160
	ds_store_2addr_b32 v7, v4, v5 offset0:84 offset1:136
	;; [unrolled: 1-line block ×5, first 2 shown]
.LBB0_17:
	s_wait_alu 0xfffe
	s_or_b32 exec_lo, exec_lo, s1
	global_wb scope:SCOPE_SE
	s_wait_dscnt 0x0
	s_barrier_signal -1
	s_barrier_wait -1
	global_inv scope:SCOPE_SE
	ds_load_2addr_b32 v[0:1], v52 offset1:68
	v_lshrrev_b32_e32 v8, 16, v70
	v_add_nc_u32_e32 v3, 0x200, v52
	v_lshrrev_b32_e32 v9, 16, v71
	v_lshrrev_b32_e32 v12, 16, v69
	s_mov_b32 s8, 0x1288b013
	ds_load_b32 v21, v43 offset:816
	s_mov_b32 s9, 0x3f5288b0
	v_mad_co_u64_u32 v[16:17], null, s4, v67, 0
	v_lshrrev_b32_e32 v43, 16, v65
	s_wait_dscnt 0x1
	v_lshrrev_b32_e32 v4, 16, v0
	v_mul_f16_e32 v2, v8, v0
	v_lshrrev_b32_e32 v5, 16, v1
	v_mul_f16_e32 v6, v9, v1
	s_delay_alu instid0(VALU_DEP_4) | instskip(NEXT) | instid1(VALU_DEP_4)
	v_mul_f16_e32 v8, v8, v4
	v_fma_f16 v7, v70, v4, -v2
	ds_load_2addr_b32 v[2:3], v3 offset0:8 offset1:144
	v_fma_f16 v4, v71, v5, -v6
	v_mul_f16_e32 v9, v9, v5
	v_fmac_f16_e32 v8, v70, v0
	v_cvt_f32_f16_e32 v6, v7
	s_wait_dscnt 0x1
	v_lshrrev_b32_e32 v22, 16, v21
	v_cvt_f32_f16_e32 v0, v4
	v_fmac_f16_e32 v9, v71, v1
	v_cvt_f32_f16_e32 v8, v8
	v_cvt_f64_f32_e32 v[4:5], v6
	v_mul_f16_e32 v23, v43, v22
	v_cvt_f64_f32_e32 v[6:7], v0
	s_delay_alu instid0(VALU_DEP_4) | instskip(SKIP_1) | instid1(VALU_DEP_4)
	v_cvt_f64_f32_e32 v[0:1], v8
	v_cvt_f32_f16_e32 v8, v9
	v_fmac_f16_e32 v23, v65, v21
	s_delay_alu instid0(VALU_DEP_2) | instskip(SKIP_2) | instid1(VALU_DEP_1)
	v_cvt_f64_f32_e32 v[8:9], v8
	s_wait_dscnt 0x0
	v_lshrrev_b32_e32 v10, 16, v2
	v_mul_f16_e32 v11, v12, v10
	s_delay_alu instid0(VALU_DEP_1) | instskip(SKIP_2) | instid1(VALU_DEP_3)
	v_fmac_f16_e32 v11, v69, v2
	v_mul_f16_e32 v2, v12, v2
	v_mad_co_u64_u32 v[12:13], null, s6, v28, 0
	v_cvt_f32_f16_e32 v11, v11
	s_delay_alu instid0(VALU_DEP_3) | instskip(NEXT) | instid1(VALU_DEP_2)
	v_fma_f16 v2, v69, v10, -v2
	v_cvt_f64_f32_e32 v[10:11], v11
	s_delay_alu instid0(VALU_DEP_2) | instskip(NEXT) | instid1(VALU_DEP_1)
	v_cvt_f32_f16_e32 v2, v2
	v_cvt_f64_f32_e32 v[14:15], v2
	v_mov_b32_e32 v2, v13
	s_wait_alu 0xfffe
	v_mul_f64_e32 v[4:5], s[8:9], v[4:5]
	v_mul_f64_e32 v[6:7], s[8:9], v[6:7]
	;; [unrolled: 1-line block ×3, first 2 shown]
	v_mad_co_u64_u32 v[18:19], null, s7, v28, v[2:3]
	v_mov_b32_e32 v2, v17
	v_mul_f64_e32 v[8:9], s[8:9], v[8:9]
	s_delay_alu instid0(VALU_DEP_3) | instskip(NEXT) | instid1(VALU_DEP_3)
	v_mov_b32_e32 v13, v18
	v_mad_co_u64_u32 v[19:20], null, s5, v67, v[2:3]
	v_cvt_f32_f16_e32 v2, v23
	s_delay_alu instid0(VALU_DEP_3) | instskip(NEXT) | instid1(VALU_DEP_1)
	v_lshlrev_b64_e32 v[12:13], 2, v[12:13]
	v_add_co_u32 v18, vcc_lo, s2, v12
	v_mul_f64_e32 v[10:11], s[8:9], v[10:11]
	v_mul_f64_e32 v[14:15], s[8:9], v[14:15]
	v_bfe_u32 v20, v5, 20, 11
	v_mov_b32_e32 v17, v19
	s_wait_alu 0xfffd
	v_add_co_ci_u32_e32 v19, vcc_lo, s3, v13, vcc_lo
	v_cvt_f64_f32_e32 v[12:13], v2
	v_and_or_b32 v2, 0x1ff, v5, v4
	v_and_or_b32 v6, 0x1ff, v7, v6
	;; [unrolled: 1-line block ×3, first 2 shown]
	v_lshrrev_b32_e32 v4, 8, v5
	v_and_or_b32 v8, 0x1ff, v9, v8
	v_cmp_ne_u32_e32 vcc_lo, 0, v2
	v_bfe_u32 v26, v1, 20, 11
	v_bfe_u32 v24, v7, 20, 11
	v_lshrrev_b32_e32 v25, 8, v1
	v_sub_nc_u32_e32 v27, 0x3f1, v20
	v_add_nc_u32_e32 v20, 0xfffffc10, v20
	s_wait_alu 0xfffd
	v_cndmask_b32_e64 v2, 0, 1, vcc_lo
	v_cmp_ne_u32_e32 vcc_lo, 0, v6
	v_sub_nc_u32_e32 v31, 0x3f1, v26
	v_lshrrev_b32_e32 v23, 8, v7
	v_lshrrev_b32_e32 v28, 8, v9
	v_and_or_b32 v2, 0xffe, v4, v2
	s_wait_alu 0xfffd
	v_cndmask_b32_e64 v6, 0, 1, vcc_lo
	v_cmp_ne_u32_e32 vcc_lo, 0, v0
	v_sub_nc_u32_e32 v30, 0x3f1, v24
	v_med3_i32 v4, v27, 0, 13
	v_lshl_or_b32 v33, v20, 12, v2
	v_bfe_u32 v29, v9, 20, 11
	s_wait_alu 0xfffd
	v_cndmask_b32_e64 v0, 0, 1, vcc_lo
	v_cmp_ne_u32_e32 vcc_lo, 0, v8
	v_and_or_b32 v10, 0x1ff, v11, v10
	v_add_nc_u32_e32 v26, 0xfffffc10, v26
	v_and_or_b32 v6, 0xffe, v23, v6
	v_and_or_b32 v0, 0xffe, v25, v0
	s_wait_alu 0xfffd
	v_cndmask_b32_e64 v8, 0, 1, vcc_lo
	v_cmp_ne_u32_e32 vcc_lo, 0, v2
	v_med3_i32 v25, v31, 0, 13
	v_or_b32_e32 v31, 0x1000, v2
	v_med3_i32 v23, v30, 0, 13
	v_lshrrev_b32_e32 v30, 8, v11
	s_wait_alu 0xfffd
	v_cndmask_b32_e64 v2, 0, 1, vcc_lo
	v_cmp_ne_u32_e32 vcc_lo, 0, v10
	v_and_or_b32 v8, 0xffe, v28, v8
	v_or_b32_e32 v36, 0x1000, v0
	v_lshrrev_b32_e32 v38, v4, v31
	v_sub_nc_u32_e32 v27, 0x3f1, v29
	s_wait_alu 0xfffd
	v_cndmask_b32_e64 v10, 0, 1, vcc_lo
	v_cmp_ne_u32_e32 vcc_lo, 0, v0
	v_add_nc_u32_e32 v29, 0xfffffc10, v29
	v_or_b32_e32 v28, 0x1000, v6
	v_lshl_or_b32 v37, v26, 12, v0
	v_and_or_b32 v10, 0xffe, v30, v10
	s_wait_alu 0xfffd
	v_cndmask_b32_e64 v0, 0, 1, vcc_lo
	v_cmp_ne_u32_e32 vcc_lo, 0, v8
	v_lshrrev_b32_e32 v30, v25, v36
	v_lshlrev_b32_e32 v4, v4, v38
	v_med3_i32 v27, v27, 0, 13
	v_or_b32_e32 v39, 0x1000, v8
	v_lshl_or_b32 v40, v29, 12, v8
	s_wait_alu 0xfffd
	v_cndmask_b32_e64 v8, 0, 1, vcc_lo
	v_lshrrev_b32_e32 v41, v23, v28
	v_lshlrev_b32_e32 v25, v25, v30
	v_cmp_ne_u32_e32 vcc_lo, v4, v31
	v_lshl_or_b32 v2, v2, 9, 0x7c00
	v_lshrrev_b32_e32 v42, v27, v39
	v_lshlrev_b32_e32 v23, v23, v41
	v_lshl_or_b32 v0, v0, 9, 0x7c00
	s_wait_alu 0xfffd
	v_cndmask_b32_e64 v4, 0, 1, vcc_lo
	v_cmp_ne_u32_e32 vcc_lo, v25, v36
	v_lshlrev_b32_e32 v27, v27, v42
	v_lshrrev_b32_e32 v1, 16, v1
	v_lshrrev_b32_e32 v5, 16, v5
	v_or_b32_e32 v4, v38, v4
	s_wait_alu 0xfffd
	v_cndmask_b32_e64 v25, 0, 1, vcc_lo
	v_cmp_ne_u32_e32 vcc_lo, v23, v28
	v_bfe_u32 v32, v11, 20, 11
	v_lshl_or_b32 v8, v8, 9, 0x7c00
	s_delay_alu instid0(VALU_DEP_4) | instskip(SKIP_4) | instid1(VALU_DEP_3)
	v_or_b32_e32 v25, v30, v25
	s_wait_alu 0xfffd
	v_cndmask_b32_e64 v23, 0, 1, vcc_lo
	v_cmp_ne_u32_e32 vcc_lo, v27, v39
	v_sub_nc_u32_e32 v35, 0x3f1, v32
	v_or_b32_e32 v23, v41, v23
	s_wait_alu 0xfffd
	v_cndmask_b32_e64 v27, 0, 1, vcc_lo
	v_cmp_gt_i32_e32 vcc_lo, 1, v20
	s_delay_alu instid0(VALU_DEP_2)
	v_or_b32_e32 v27, v42, v27
	s_wait_alu 0xfffd
	v_cndmask_b32_e32 v4, v33, v4, vcc_lo
	v_cmp_gt_i32_e32 vcc_lo, 1, v26
	s_wait_alu 0xfffd
	v_dual_cndmask_b32 v25, v37, v25 :: v_dual_add_nc_u32 v24, 0xfffffc10, v24
	s_delay_alu instid0(VALU_DEP_1) | instskip(SKIP_1) | instid1(VALU_DEP_3)
	v_lshl_or_b32 v34, v24, 12, v6
	v_cmp_gt_i32_e32 vcc_lo, 1, v24
	v_and_b32_e32 v30, 7, v25
	v_lshrrev_b32_e32 v25, 2, v25
	s_wait_alu 0xfffd
	v_cndmask_b32_e32 v23, v34, v23, vcc_lo
	v_cmp_gt_i32_e32 vcc_lo, 1, v29
	v_and_b32_e32 v28, 7, v4
	v_cmp_eq_u32_e64 s0, 3, v30
	v_lshrrev_b32_e32 v4, 2, v4
	s_wait_alu 0xfffd
	v_cndmask_b32_e32 v27, v40, v27, vcc_lo
	v_cmp_lt_i32_e32 vcc_lo, 5, v30
	v_cmp_lt_i32_e64 s1, 5, v28
	v_cmp_eq_u32_e64 s2, 3, v28
	s_delay_alu instid0(VALU_DEP_4)
	v_and_b32_e32 v28, 7, v27
	s_or_b32 vcc_lo, s0, vcc_lo
	v_cmp_gt_i32_e64 s0, 31, v26
	s_wait_alu 0xfffe
	v_add_co_ci_u32_e32 v25, vcc_lo, 0, v25, vcc_lo
	s_or_b32 vcc_lo, s2, s1
	v_cmp_gt_i32_e64 s1, 31, v20
	s_wait_alu 0xfffe
	v_add_co_ci_u32_e32 v4, vcc_lo, 0, v4, vcc_lo
	v_cmp_lt_i32_e32 vcc_lo, 5, v28
	v_cndmask_b32_e64 v25, 0x7c00, v25, s0
	v_cmp_eq_u32_e64 s0, 3, v28
	v_lshrrev_b32_e32 v27, 2, v27
	s_wait_alu 0xf1ff
	v_cndmask_b32_e64 v4, 0x7c00, v4, s1
	v_cmp_eq_u32_e64 s1, 0x40f, v26
	s_mul_u64 s[2:3], s[4:5], 0x110
	s_or_b32 vcc_lo, s0, vcc_lo
	s_delay_alu instid0(VALU_DEP_1)
	v_cndmask_b32_e64 v0, v25, v0, s1
	s_wait_alu 0xfffe
	v_add_co_ci_u32_e32 v25, vcc_lo, 0, v27, vcc_lo
	v_cmp_eq_u32_e32 vcc_lo, 0x40f, v20
	v_cmp_eq_u32_e64 s1, 0x40f, v29
	v_and_or_b32 v0, 0x8000, v1, v0
	s_wait_alu 0xfffd
	v_dual_cndmask_b32 v2, v4, v2 :: v_dual_and_b32 v1, 7, v23
	v_cmp_gt_i32_e32 vcc_lo, 31, v29
	s_delay_alu instid0(VALU_DEP_3) | instskip(NEXT) | instid1(VALU_DEP_3)
	v_and_b32_e32 v0, 0xffff, v0
	v_cmp_eq_u32_e64 s0, 3, v1
	s_delay_alu instid0(VALU_DEP_4)
	v_and_or_b32 v2, 0x8000, v5, v2
	s_wait_alu 0xfffd
	v_cndmask_b32_e32 v4, 0x7c00, v25, vcc_lo
	v_cmp_lt_i32_e32 vcc_lo, 5, v1
	v_med3_i32 v5, v35, 0, 13
	v_lshrrev_b32_e32 v25, 16, v63
	v_lshl_or_b32 v20, v2, 16, v0
	v_lshrrev_b32_e32 v0, 2, v23
	s_or_b32 vcc_lo, s0, vcc_lo
	v_or_b32_e32 v2, 0x1000, v10
	v_cndmask_b32_e64 v4, v4, v8, s1
	s_wait_alu 0xfffe
	v_add_co_ci_u32_e32 v0, vcc_lo, 0, v0, vcc_lo
	v_cmp_ne_u32_e32 vcc_lo, 0, v6
	v_lshrrev_b32_e32 v6, 16, v9
	v_lshrrev_b32_e32 v8, v5, v2
	s_wait_alu 0xfffd
	v_cndmask_b32_e64 v1, 0, 1, vcc_lo
	v_cmp_gt_i32_e32 vcc_lo, 31, v24
	s_delay_alu instid0(VALU_DEP_2)
	v_lshl_or_b32 v23, v1, 9, 0x7c00
	s_wait_alu 0xfffd
	v_cndmask_b32_e32 v9, 0x7c00, v0, vcc_lo
	v_lshlrev_b64_e32 v[0:1], 2, v[16:17]
	v_and_or_b32 v16, 0x8000, v6, v4
	v_lshlrev_b32_e32 v4, v5, v8
	v_cmp_eq_u32_e32 vcc_lo, 0x40f, v24
	v_and_or_b32 v5, 0x1ff, v15, v14
	v_mul_f16_e32 v6, v43, v21
	v_lshrrev_b32_e32 v14, 16, v7
	v_bfe_u32 v17, v15, 20, 11
	s_wait_alu 0xfffd
	v_cndmask_b32_e32 v9, v9, v23, vcc_lo
	v_cmp_ne_u32_e32 vcc_lo, v4, v2
	v_add_nc_u32_e32 v21, 0xfffffc10, v32
	s_delay_alu instid0(VALU_DEP_3)
	v_and_or_b32 v9, 0x8000, v14, v9
	s_wait_alu 0xfffd
	v_cndmask_b32_e64 v2, 0, 1, vcc_lo
	v_cmp_ne_u32_e32 vcc_lo, 0, v5
	v_fma_f16 v5, v65, v22, -v6
	v_lshrrev_b32_e32 v6, 8, v15
	v_lshl_or_b32 v23, v21, 12, v10
	v_or_b32_e32 v2, v8, v2
	s_wait_alu 0xfffd
	v_cndmask_b32_e64 v4, 0, 1, vcc_lo
	v_cvt_f32_f16_e32 v7, v5
	v_sub_nc_u32_e32 v8, 0x3f1, v17
	v_cmp_gt_i32_e32 vcc_lo, 1, v21
	v_add_nc_u32_e32 v17, 0xfffffc10, v17
	v_and_or_b32 v22, 0xffe, v6, v4
	v_mul_f64_e32 v[4:5], s[8:9], v[12:13]
	v_cvt_f64_f32_e32 v[6:7], v7
	v_med3_i32 v8, v8, 0, 13
	v_and_b32_e32 v13, 0xffff, v16
	v_or_b32_e32 v12, 0x1000, v22
	s_wait_alu 0xfffd
	v_cndmask_b32_e32 v2, v23, v2, vcc_lo
	v_add_co_u32 v0, vcc_lo, v18, v0
	s_wait_alu 0xfffd
	v_add_co_ci_u32_e32 v1, vcc_lo, v19, v1, vcc_lo
	v_lshrrev_b32_e32 v14, v8, v12
	v_lshl_or_b32 v16, v9, 16, v13
	v_and_b32_e32 v13, 7, v2
	v_lshrrev_b32_e32 v2, 2, v2
	v_lshrrev_b32_e32 v15, 16, v15
	v_lshlrev_b32_e32 v18, v8, v14
	v_add_co_u32 v8, vcc_lo, v0, s2
	s_wait_alu 0xfffd
	v_add_co_ci_u32_e32 v9, vcc_lo, s3, v1, vcc_lo
	v_cmp_lt_i32_e32 vcc_lo, 5, v13
	v_cmp_eq_u32_e64 s0, 3, v13
	v_cmp_ne_u32_e64 s1, v18, v12
	v_lshrrev_b32_e32 v18, 16, v3
	v_lshl_or_b32 v13, v17, 12, v22
	s_delay_alu instid0(VALU_DEP_4) | instskip(NEXT) | instid1(VALU_DEP_3)
	s_or_b32 vcc_lo, s0, vcc_lo
	v_cndmask_b32_e64 v12, 0, 1, s1
	s_wait_alu 0xfffe
	v_add_co_ci_u32_e32 v2, vcc_lo, 0, v2, vcc_lo
	v_cmp_ne_u32_e32 vcc_lo, 0, v10
	s_delay_alu instid0(VALU_DEP_3) | instskip(SKIP_4) | instid1(VALU_DEP_3)
	v_or_b32_e32 v12, v14, v12
	v_mul_f16_e32 v14, v25, v18
	s_wait_alu 0xfffd
	v_cndmask_b32_e64 v10, 0, 1, vcc_lo
	v_cmp_gt_i32_e32 vcc_lo, 1, v17
	v_fmac_f16_e32 v14, v63, v3
	v_and_or_b32 v4, 0x1ff, v5, v4
	v_mul_f64_e32 v[6:7], s[8:9], v[6:7]
	s_wait_alu 0xfffd
	v_cndmask_b32_e32 v19, v13, v12, vcc_lo
	v_cmp_gt_i32_e32 vcc_lo, 31, v21
	v_cvt_f32_f16_e32 v12, v14
	v_lshl_or_b32 v10, v10, 9, 0x7c00
	v_lshrrev_b32_e32 v14, 8, v5
	s_wait_alu 0xfffd
	v_dual_cndmask_b32 v2, 0x7c00, v2 :: v_dual_and_b32 v23, 7, v19
	v_cmp_ne_u32_e32 vcc_lo, 0, v4
	v_cvt_f64_f32_e32 v[12:13], v12
	v_bfe_u32 v24, v5, 20, 11
	s_delay_alu instid0(VALU_DEP_4) | instskip(SKIP_4) | instid1(VALU_DEP_3)
	v_cmp_eq_u32_e64 s0, 3, v23
	v_mul_f16_e32 v3, v25, v3
	s_wait_alu 0xfffd
	v_cndmask_b32_e64 v4, 0, 1, vcc_lo
	v_cmp_eq_u32_e32 vcc_lo, 0x40f, v21
	v_fma_f16 v3, v63, v18, -v3
	s_delay_alu instid0(VALU_DEP_3)
	v_and_or_b32 v4, 0xffe, v14, v4
	s_wait_alu 0xfffd
	v_cndmask_b32_e32 v2, v2, v10, vcc_lo
	v_cmp_lt_i32_e32 vcc_lo, 5, v23
	v_lshrrev_b32_e32 v14, 2, v19
	v_lshrrev_b32_e32 v10, 16, v11
	v_sub_nc_u32_e32 v11, 0x3f1, v24
	v_or_b32_e32 v19, 0x1000, v4
	s_or_b32 vcc_lo, s0, vcc_lo
	v_cvt_f32_f16_e32 v3, v3
	s_wait_alu 0xfffe
	v_add_co_ci_u32_e32 v14, vcc_lo, 0, v14, vcc_lo
	v_med3_i32 v11, v11, 0, 13
	v_cmp_ne_u32_e32 vcc_lo, 0, v22
	v_and_or_b32 v22, 0x8000, v10, v2
	v_cvt_f64_f32_e32 v[2:3], v3
	s_delay_alu instid0(VALU_DEP_4)
	v_lshrrev_b32_e32 v21, v11, v19
	s_wait_alu 0xfffd
	v_cndmask_b32_e64 v18, 0, 1, vcc_lo
	v_cmp_gt_i32_e32 vcc_lo, 31, v17
	v_and_or_b32 v6, 0x1ff, v7, v6
	v_lshlrev_b32_e32 v10, v11, v21
	s_delay_alu instid0(VALU_DEP_4)
	v_lshl_or_b32 v18, v18, 9, 0x7c00
	s_wait_alu 0xfffd
	v_cndmask_b32_e32 v14, 0x7c00, v14, vcc_lo
	v_cmp_eq_u32_e32 vcc_lo, 0x40f, v17
	v_lshrrev_b32_e32 v23, 8, v7
	s_wait_alu 0xfffd
	s_delay_alu instid0(VALU_DEP_3)
	v_cndmask_b32_e32 v14, v14, v18, vcc_lo
	v_cmp_ne_u32_e32 vcc_lo, v10, v19
	v_mul_f64_e32 v[10:11], s[8:9], v[12:13]
	v_add_nc_u32_e32 v18, 0xfffffc10, v24
	v_add_nc_u32_e32 v19, 0x400, v52
	v_bfe_u32 v24, v7, 20, 11
	s_wait_alu 0xfffd
	v_cndmask_b32_e64 v17, 0, 1, vcc_lo
	v_cmp_ne_u32_e32 vcc_lo, 0, v6
	v_and_or_b32 v14, 0x8000, v15, v14
	ds_load_2addr_b32 v[12:13], v19 offset0:84 offset1:152
	v_sub_nc_u32_e32 v19, 0x3f1, v24
	v_or_b32_e32 v15, v21, v17
	s_wait_alu 0xfffd
	v_cndmask_b32_e64 v6, 0, 1, vcc_lo
	v_lshl_or_b32 v17, v18, 12, v4
	v_cmp_gt_i32_e32 vcc_lo, 1, v18
	v_med3_i32 v19, v19, 0, 13
	s_clause 0x1
	global_store_b32 v[0:1], v20, off
	global_store_b32 v[8:9], v16, off
	v_and_or_b32 v6, 0xffe, v23, v6
	v_and_b32_e32 v21, 0xffff, v22
	s_wait_alu 0xfffd
	v_cndmask_b32_e32 v15, v17, v15, vcc_lo
	v_add_co_u32 v0, vcc_lo, v8, s2
	v_or_b32_e32 v17, 0x1000, v6
	s_wait_alu 0xfffd
	v_add_co_ci_u32_e32 v1, vcc_lo, s3, v9, vcc_lo
	v_and_b32_e32 v16, 7, v15
	v_mul_f64_e32 v[2:3], s[8:9], v[2:3]
	v_lshrrev_b32_e32 v20, v19, v17
	v_lshrrev_b32_e32 v15, 2, v15
	v_lshl_or_b32 v14, v14, 16, v21
	v_cmp_lt_i32_e32 vcc_lo, 5, v16
	v_cmp_eq_u32_e64 s0, 3, v16
	v_lshlrev_b32_e32 v8, v19, v20
	s_wait_dscnt 0x0
	v_lshrrev_b32_e32 v21, 16, v12
	v_lshrrev_b32_e32 v23, 16, v62
	v_add_nc_u32_e32 v16, 0xfffffc10, v24
	s_or_b32 vcc_lo, s0, vcc_lo
	v_cmp_ne_u32_e64 s1, v8, v17
	s_wait_alu 0xfffe
	v_add_co_ci_u32_e32 v15, vcc_lo, 0, v15, vcc_lo
	v_cmp_ne_u32_e32 vcc_lo, 0, v4
	v_mul_f16_e32 v9, v23, v21
	s_wait_alu 0xf1ff
	v_cndmask_b32_e64 v8, 0, 1, s1
	v_lshl_or_b32 v19, v16, 12, v6
	v_and_or_b32 v10, 0x1ff, v11, v10
	s_wait_alu 0xfffd
	v_cndmask_b32_e64 v4, 0, 1, vcc_lo
	v_cmp_gt_i32_e32 vcc_lo, 1, v16
	v_or_b32_e32 v17, v20, v8
	v_fmac_f16_e32 v9, v62, v12
	v_bfe_u32 v20, v11, 20, 11
	v_lshl_or_b32 v4, v4, 9, 0x7c00
	v_mul_f16_e32 v12, v23, v12
	s_wait_alu 0xfffd
	v_cndmask_b32_e32 v17, v19, v17, vcc_lo
	v_cmp_ne_u32_e32 vcc_lo, 0, v10
	v_cvt_f32_f16_e32 v8, v9
	v_lshrrev_b32_e32 v19, 8, v11
	v_fma_f16 v12, v62, v21, -v12
	v_and_b32_e32 v22, 7, v17
	s_wait_alu 0xfffd
	v_cndmask_b32_e64 v10, 0, 1, vcc_lo
	v_cmp_gt_i32_e32 vcc_lo, 31, v18
	v_cvt_f64_f32_e32 v[8:9], v8
	v_cvt_f32_f16_e32 v12, v12
	v_cmp_eq_u32_e64 s0, 3, v22
	v_and_or_b32 v10, 0xffe, v19, v10
	s_wait_alu 0xfffd
	v_cndmask_b32_e32 v15, 0x7c00, v15, vcc_lo
	v_sub_nc_u32_e32 v19, 0x3f1, v20
	v_cmp_eq_u32_e32 vcc_lo, 0x40f, v18
	v_and_or_b32 v2, 0x1ff, v3, v2
	v_bfe_u32 v21, v3, 20, 11
	v_add_nc_u32_e32 v20, 0xfffffc10, v20
	v_med3_i32 v18, v19, 0, 13
	s_wait_alu 0xfffd
	v_cndmask_b32_e32 v15, v15, v4, vcc_lo
	v_or_b32_e32 v4, 0x1000, v10
	v_cmp_lt_i32_e32 vcc_lo, 5, v22
	v_lshrrev_b32_e32 v19, 16, v5
	v_lshrrev_b32_e32 v5, 2, v17
	;; [unrolled: 1-line block ×4, first 2 shown]
	s_or_b32 vcc_lo, s0, vcc_lo
	global_store_b32 v[0:1], v14, off
	s_wait_alu 0xfffe
	v_add_co_ci_u32_e32 v22, vcc_lo, 0, v5, vcc_lo
	v_lshlrev_b32_e32 v5, v18, v17
	v_cmp_ne_u32_e32 vcc_lo, 0, v2
	v_lshrrev_b32_e32 v18, 8, v3
	v_and_or_b32 v14, 0x8000, v19, v15
	v_lshrrev_b32_e32 v11, 16, v11
	v_lshrrev_b32_e32 v24, 16, v54
	s_wait_alu 0xfffd
	v_cndmask_b32_e64 v2, 0, 1, vcc_lo
	v_cmp_ne_u32_e32 vcc_lo, v5, v4
	v_and_b32_e32 v14, 0xffff, v14
	s_delay_alu instid0(VALU_DEP_3)
	v_and_or_b32 v2, 0xffe, v18, v2
	s_wait_alu 0xfffd
	v_cndmask_b32_e64 v23, 0, 1, vcc_lo
	v_cmp_ne_u32_e32 vcc_lo, 0, v6
	v_sub_nc_u32_e32 v18, 0x3f1, v21
	v_mul_f64_e32 v[4:5], s[8:9], v[8:9]
	v_cvt_f64_f32_e32 v[8:9], v12
	s_wait_alu 0xfffd
	v_cndmask_b32_e64 v6, 0, 1, vcc_lo
	v_cmp_gt_i32_e32 vcc_lo, 31, v16
	v_or_b32_e32 v12, v17, v23
	v_lshl_or_b32 v17, v20, 12, v10
	v_or_b32_e32 v23, 0x1000, v2
	v_med3_i32 v18, v18, 0, 13
	s_wait_alu 0xfffd
	v_cndmask_b32_e32 v22, 0x7c00, v22, vcc_lo
	v_cmp_gt_i32_e32 vcc_lo, 1, v20
	v_lshl_or_b32 v6, v6, 9, 0x7c00
	s_wait_alu 0xfffd
	v_cndmask_b32_e32 v12, v17, v12, vcc_lo
	v_lshrrev_b32_e32 v17, v18, v23
	v_cmp_eq_u32_e32 vcc_lo, 0x40f, v16
	s_delay_alu instid0(VALU_DEP_3) | instskip(NEXT) | instid1(VALU_DEP_3)
	v_and_b32_e32 v16, 7, v12
	v_lshlrev_b32_e32 v18, v18, v17
	s_wait_alu 0xfffd
	v_cndmask_b32_e32 v6, v22, v6, vcc_lo
	v_lshrrev_b32_e32 v22, 16, v60
	v_cmp_lt_i32_e32 vcc_lo, 5, v16
	v_cmp_ne_u32_e64 s0, v18, v23
	s_delay_alu instid0(VALU_DEP_4)
	v_and_or_b32 v15, 0x8000, v7, v6
	v_lshrrev_b32_e32 v7, 2, v12
	v_add_nc_u32_e32 v18, 0xfffffc10, v21
	s_wait_alu 0xf1ff
	v_cndmask_b32_e64 v6, 0, 1, s0
	v_cmp_eq_u32_e64 s0, 3, v16
	v_lshl_or_b32 v14, v15, 16, v14
	v_lshl_or_b32 v12, v18, 12, v2
	s_delay_alu instid0(VALU_DEP_4) | instskip(NEXT) | instid1(VALU_DEP_4)
	v_or_b32_e32 v6, v17, v6
	s_or_b32 vcc_lo, s0, vcc_lo
	v_lshrrev_b32_e32 v17, 16, v13
	s_wait_alu 0xfffe
	v_add_co_ci_u32_e32 v16, vcc_lo, 0, v7, vcc_lo
	v_cmp_ne_u32_e32 vcc_lo, 0, v10
	v_and_or_b32 v4, 0x1ff, v5, v4
	v_bfe_u32 v21, v5, 20, 11
	v_lshrrev_b32_e32 v19, 8, v5
	s_wait_alu 0xfffd
	v_cndmask_b32_e64 v10, 0, 1, vcc_lo
	v_cmp_gt_i32_e32 vcc_lo, 1, v18
	s_wait_alu 0xfffd
	v_cndmask_b32_e32 v12, v12, v6, vcc_lo
	v_mul_f64_e32 v[6:7], s[8:9], v[8:9]
	v_cmp_gt_i32_e32 vcc_lo, 31, v20
	v_lshl_or_b32 v9, v10, 9, 0x7c00
	s_delay_alu instid0(VALU_DEP_4)
	v_and_b32_e32 v10, 7, v12
	s_wait_alu 0xfffd
	v_cndmask_b32_e32 v8, 0x7c00, v16, vcc_lo
	v_mul_f16_e32 v16, v22, v17
	v_cmp_ne_u32_e32 vcc_lo, 0, v4
	v_cmp_eq_u32_e64 s0, 3, v10
	s_delay_alu instid0(VALU_DEP_3) | instskip(SKIP_3) | instid1(VALU_DEP_2)
	v_fmac_f16_e32 v16, v60, v13
	s_wait_alu 0xfffd
	v_cndmask_b32_e64 v4, 0, 1, vcc_lo
	v_cmp_eq_u32_e32 vcc_lo, 0x40f, v20
	v_and_or_b32 v4, 0xffe, v19, v4
	s_wait_alu 0xfffd
	v_cndmask_b32_e32 v20, v8, v9, vcc_lo
	v_cmp_lt_i32_e32 vcc_lo, 5, v10
	v_sub_nc_u32_e32 v8, 0x3f1, v21
	v_cvt_f32_f16_e32 v9, v16
	v_lshrrev_b32_e32 v10, 2, v12
	v_or_b32_e32 v12, 0x1000, v4
	s_or_b32 vcc_lo, s0, vcc_lo
	v_med3_i32 v16, v8, 0, 13
	v_cvt_f64_f32_e32 v[8:9], v9
	s_wait_alu 0xfffe
	v_add_co_ci_u32_e32 v10, vcc_lo, 0, v10, vcc_lo
	v_cmp_ne_u32_e32 vcc_lo, 0, v2
	v_lshrrev_b32_e32 v19, v16, v12
	s_wait_alu 0xfffd
	v_cndmask_b32_e64 v2, 0, 1, vcc_lo
	v_cmp_gt_i32_e32 vcc_lo, 31, v18
	s_delay_alu instid0(VALU_DEP_3)
	v_lshlrev_b32_e32 v15, v16, v19
	v_and_or_b32 v16, 0x8000, v11, v20
	v_lshrrev_b32_e32 v11, 8, v7
	v_lshl_or_b32 v2, v2, 9, 0x7c00
	s_wait_alu 0xfffd
	v_cndmask_b32_e32 v10, 0x7c00, v10, vcc_lo
	v_cmp_eq_u32_e32 vcc_lo, 0x40f, v18
	v_add_nc_u32_e32 v20, 0x600, v52
	v_and_b32_e32 v16, 0xffff, v16
	s_wait_alu 0xfffd
	v_cndmask_b32_e32 v18, v10, v2, vcc_lo
	v_and_or_b32 v2, 0x1ff, v7, v6
	v_cmp_ne_u32_e32 vcc_lo, v15, v12
	v_mul_f16_e32 v10, v22, v13
	v_add_nc_u32_e32 v12, 0xfffffc10, v21
	v_bfe_u32 v13, v7, 20, 11
	v_lshrrev_b32_e32 v21, 16, v3
	s_wait_alu 0xfffd
	v_cndmask_b32_e64 v6, 0, 1, vcc_lo
	v_cmp_ne_u32_e32 vcc_lo, 0, v2
	v_fma_f16 v10, v60, v17, -v10
	v_lshl_or_b32 v15, v12, 12, v4
	s_delay_alu instid0(VALU_DEP_4) | instskip(SKIP_4) | instid1(VALU_DEP_3)
	v_or_b32_e32 v6, v19, v6
	s_wait_alu 0xfffd
	v_cndmask_b32_e64 v2, 0, 1, vcc_lo
	v_cvt_f32_f16_e32 v10, v10
	v_cmp_gt_i32_e32 vcc_lo, 1, v12
	v_and_or_b32 v17, 0xffe, v11, v2
	v_sub_nc_u32_e32 v2, 0x3f1, v13
	s_delay_alu instid0(VALU_DEP_4)
	v_cvt_f64_f32_e32 v[10:11], v10
	s_wait_alu 0xfffd
	v_cndmask_b32_e32 v6, v15, v6, vcc_lo
	v_add_co_u32 v0, vcc_lo, v0, s2
	v_med3_i32 v19, v2, 0, 13
	v_mul_f64_e32 v[2:3], s[8:9], v[8:9]
	v_or_b32_e32 v15, 0x1000, v17
	v_and_b32_e32 v22, 7, v6
	ds_load_2addr_b32 v[8:9], v20 offset0:92 offset1:160
	s_wait_alu 0xfffd
	v_add_co_ci_u32_e32 v1, vcc_lo, s3, v1, vcc_lo
	v_lshrrev_b32_e32 v23, v19, v15
	v_cmp_lt_i32_e32 vcc_lo, 5, v22
	v_cmp_eq_u32_e64 s0, 3, v22
	v_lshrrev_b32_e32 v6, 2, v6
	v_add_nc_u32_e32 v13, 0xfffffc10, v13
	v_lshlrev_b32_e32 v19, v19, v23
	v_and_or_b32 v18, 0x8000, v21, v18
	s_or_b32 vcc_lo, s0, vcc_lo
	v_lshrrev_b32_e32 v22, 16, v58
	s_wait_alu 0xfffe
	v_add_co_ci_u32_e32 v6, vcc_lo, 0, v6, vcc_lo
	v_cmp_ne_u32_e64 s1, v19, v15
	v_cmp_ne_u32_e32 vcc_lo, 0, v4
	v_lshl_or_b32 v19, v13, 12, v17
	v_lshl_or_b32 v16, v18, 16, v16
	s_wait_alu 0xf1ff
	v_cndmask_b32_e64 v15, 0, 1, s1
	s_wait_alu 0xfffd
	v_cndmask_b32_e64 v4, 0, 1, vcc_lo
	v_cmp_gt_i32_e32 vcc_lo, 31, v12
	s_wait_dscnt 0x0
	v_lshrrev_b32_e32 v20, 16, v8
	v_or_b32_e32 v15, v23, v15
	v_lshl_or_b32 v4, v4, 9, 0x7c00
	s_wait_alu 0xfffd
	v_cndmask_b32_e32 v6, 0x7c00, v6, vcc_lo
	v_cmp_gt_i32_e32 vcc_lo, 1, v13
	v_mul_f16_e32 v18, v22, v20
	v_mul_f64_e32 v[10:11], s[8:9], v[10:11]
	s_wait_alu 0xfffd
	v_cndmask_b32_e32 v15, v19, v15, vcc_lo
	v_cmp_eq_u32_e32 vcc_lo, 0x40f, v12
	v_fmac_f16_e32 v18, v58, v8
	v_and_or_b32 v2, 0x1ff, v3, v2
	v_lshrrev_b32_e32 v19, 16, v5
	v_mul_f16_e32 v8, v22, v8
	s_wait_alu 0xfffd
	v_cndmask_b32_e32 v12, v6, v4, vcc_lo
	v_and_b32_e32 v4, 7, v15
	v_cmp_ne_u32_e64 s1, 0, v2
	v_lshrrev_b32_e32 v6, 2, v15
	v_lshrrev_b32_e32 v15, 8, v3
	v_fma_f16 v8, v58, v20, -v8
	v_cmp_lt_i32_e32 vcc_lo, 5, v4
	v_cmp_eq_u32_e64 s0, 3, v4
	v_cvt_f32_f16_e32 v4, v18
	s_wait_alu 0xf1ff
	v_cndmask_b32_e64 v2, 0, 1, s1
	v_bfe_u32 v18, v3, 20, 11
	v_cvt_f32_f16_e32 v8, v8
	s_or_b32 vcc_lo, s0, vcc_lo
	v_cvt_f64_f32_e32 v[4:5], v4
	v_and_or_b32 v2, 0xffe, v15, v2
	v_sub_nc_u32_e32 v15, 0x3f1, v18
	s_wait_alu 0xfffe
	v_add_co_ci_u32_e32 v6, vcc_lo, 0, v6, vcc_lo
	v_cmp_ne_u32_e32 vcc_lo, 0, v17
	v_or_b32_e32 v21, 0x1000, v2
	v_med3_i32 v15, v15, 0, 13
	s_wait_alu 0xfffd
	v_cndmask_b32_e64 v17, 0, 1, vcc_lo
	v_cmp_gt_i32_e32 vcc_lo, 31, v13
	s_delay_alu instid0(VALU_DEP_3) | instskip(NEXT) | instid1(VALU_DEP_3)
	v_lshrrev_b32_e32 v22, v15, v21
	v_lshl_or_b32 v17, v17, 9, 0x7c00
	s_wait_alu 0xfffd
	v_cndmask_b32_e32 v6, 0x7c00, v6, vcc_lo
	v_cmp_eq_u32_e32 vcc_lo, 0x40f, v13
	v_lshlrev_b32_e32 v15, v15, v22
	v_and_or_b32 v10, 0x1ff, v11, v10
	v_and_or_b32 v19, 0x8000, v19, v12
	v_bfe_u32 v20, v11, 20, 11
	s_wait_alu 0xfffd
	v_cndmask_b32_e32 v13, v6, v17, vcc_lo
	v_add_co_u32 v6, vcc_lo, v0, s2
	v_lshrrev_b32_e32 v17, 16, v7
	s_wait_alu 0xfffd
	v_add_co_ci_u32_e32 v7, vcc_lo, s3, v1, vcc_lo
	v_cmp_ne_u32_e32 vcc_lo, v15, v21
	v_and_b32_e32 v19, 0xffff, v19
	v_and_or_b32 v17, 0x8000, v17, v13
	v_cvt_f64_f32_e32 v[12:13], v8
	s_clause 0x1
	global_store_b32 v[0:1], v14, off
	global_store_b32 v[6:7], v16, off
	s_wait_alu 0xfffd
	v_cndmask_b32_e64 v8, 0, 1, vcc_lo
	v_cmp_ne_u32_e32 vcc_lo, 0, v10
	v_lshl_or_b32 v14, v17, 16, v19
	s_delay_alu instid0(VALU_DEP_3)
	v_or_b32_e32 v8, v22, v8
	v_add_nc_u32_e32 v15, 0xfffffc10, v18
	s_wait_alu 0xfffd
	v_cndmask_b32_e64 v10, 0, 1, vcc_lo
	v_lshrrev_b32_e32 v18, 8, v11
	v_mul_f64_e32 v[4:5], s[8:9], v[4:5]
	v_lshrrev_b32_e32 v22, 16, v56
	v_lshl_or_b32 v21, v15, 12, v2
	v_cmp_gt_i32_e32 vcc_lo, 1, v15
	v_and_or_b32 v10, 0xffe, v18, v10
	v_sub_nc_u32_e32 v18, 0x3f1, v20
	s_wait_alu 0xfffd
	v_cndmask_b32_e32 v8, v21, v8, vcc_lo
	s_delay_alu instid0(VALU_DEP_3) | instskip(NEXT) | instid1(VALU_DEP_3)
	v_or_b32_e32 v21, 0x1000, v10
	v_med3_i32 v18, v18, 0, 13
	v_add_co_u32 v0, vcc_lo, v6, s2
	s_delay_alu instid0(VALU_DEP_4)
	v_and_b32_e32 v16, 7, v8
	s_wait_alu 0xfffd
	v_add_co_ci_u32_e32 v1, vcc_lo, s3, v7, vcc_lo
	v_lshrrev_b32_e32 v17, v18, v21
	v_lshrrev_b32_e32 v7, 2, v8
	v_cmp_lt_i32_e32 vcc_lo, 5, v16
	v_cmp_eq_u32_e64 s0, 3, v16
	v_lshrrev_b32_e32 v16, 16, v9
	v_lshlrev_b32_e32 v6, v18, v17
	v_add_nc_u32_e32 v18, 0xfffffc10, v20
	global_store_b32 v[0:1], v14, off
	s_or_b32 vcc_lo, s0, vcc_lo
	v_mul_f16_e32 v19, v22, v16
	v_cmp_ne_u32_e64 s1, v6, v21
	s_wait_alu 0xfffe
	v_add_co_ci_u32_e32 v20, vcc_lo, 0, v7, vcc_lo
	v_cmp_ne_u32_e32 vcc_lo, 0, v2
	v_mul_f64_e32 v[6:7], s[8:9], v[12:13]
	s_wait_alu 0xf1ff
	v_cndmask_b32_e64 v8, 0, 1, s1
	v_lshl_or_b32 v12, v18, 12, v10
	v_fmac_f16_e32 v19, v56, v9
	s_wait_alu 0xfffd
	v_cndmask_b32_e64 v2, 0, 1, vcc_lo
	v_cmp_gt_i32_e32 vcc_lo, 1, v18
	v_or_b32_e32 v8, v17, v8
	v_lshrrev_b32_e32 v21, 16, v3
	v_and_or_b32 v4, 0x1ff, v5, v4
	v_lshl_or_b32 v2, v2, 9, 0x7c00
	s_wait_alu 0xfffd
	v_cndmask_b32_e32 v8, v12, v8, vcc_lo
	v_cmp_gt_i32_e32 vcc_lo, 31, v15
	v_cvt_f32_f16_e32 v12, v19
	s_wait_alu 0xfffd
	v_cndmask_b32_e32 v17, 0x7c00, v20, vcc_lo
	v_cmp_ne_u32_e32 vcc_lo, 0, v4
	s_delay_alu instid0(VALU_DEP_3) | instskip(SKIP_4) | instid1(VALU_DEP_2)
	v_cvt_f64_f32_e32 v[12:13], v12
	v_lshrrev_b32_e32 v20, 8, v5
	s_wait_alu 0xfffd
	v_cndmask_b32_e64 v4, 0, 1, vcc_lo
	v_cmp_eq_u32_e32 vcc_lo, 0x40f, v15
	v_and_or_b32 v4, 0xffe, v20, v4
	s_wait_alu 0xfffd
	v_cndmask_b32_e32 v15, v17, v2, vcc_lo
	v_bfe_u32 v17, v5, 20, 11
	v_mul_f16_e32 v2, v22, v9
	v_lshrrev_b32_e32 v5, 16, v5
	v_or_b32_e32 v9, 0x1000, v4
	v_and_or_b32 v15, 0x8000, v21, v15
	v_sub_nc_u32_e32 v3, 0x3f1, v17
	v_add_nc_u32_e32 v17, 0xfffffc10, v17
	v_and_b32_e32 v19, 7, v8
	v_lshrrev_b32_e32 v8, 2, v8
	v_fma_f16 v2, v56, v16, -v2
	v_med3_i32 v16, v3, 0, 13
	v_and_or_b32 v6, 0x1ff, v7, v6
	v_cmp_lt_i32_e32 vcc_lo, 5, v19
	v_cmp_eq_u32_e64 s0, 3, v19
	v_cvt_f32_f16_e32 v2, v2
	v_lshrrev_b32_e32 v19, v16, v9
	v_bfe_u32 v23, v7, 20, 11
	s_delay_alu instid0(VALU_DEP_4) | instskip(NEXT) | instid1(VALU_DEP_3)
	s_or_b32 vcc_lo, s0, vcc_lo
	v_cvt_f64_f32_e32 v[2:3], v2
	s_wait_alu 0xfffe
	v_add_co_ci_u32_e32 v8, vcc_lo, 0, v8, vcc_lo
	v_cmp_ne_u32_e32 vcc_lo, 0, v10
	s_wait_alu 0xfffd
	v_cndmask_b32_e64 v10, 0, 1, vcc_lo
	v_cmp_gt_i32_e32 vcc_lo, 31, v18
	s_delay_alu instid0(VALU_DEP_2)
	v_lshl_or_b32 v10, v10, 9, 0x7c00
	s_wait_alu 0xfffd
	v_cndmask_b32_e32 v20, 0x7c00, v8, vcc_lo
	v_lshlrev_b32_e32 v8, v16, v19
	v_cmp_ne_u32_e32 vcc_lo, 0, v6
	v_lshrrev_b32_e32 v16, 8, v7
	v_lshrrev_b32_e32 v7, 16, v7
	s_wait_alu 0xfffd
	v_cndmask_b32_e64 v6, 0, 1, vcc_lo
	v_cmp_ne_u32_e32 vcc_lo, v8, v9
	v_mul_f64_e32 v[8:9], s[8:9], v[12:13]
	s_delay_alu instid0(VALU_DEP_3)
	v_and_or_b32 v6, 0xffe, v16, v6
	s_wait_alu 0xfffd
	v_cndmask_b32_e64 v22, 0, 1, vcc_lo
	v_cmp_eq_u32_e32 vcc_lo, 0x40f, v18
	v_lshl_or_b32 v16, v17, 12, v4
	v_or_b32_e32 v18, 0x1000, v6
	s_delay_alu instid0(VALU_DEP_4)
	v_or_b32_e32 v13, v19, v22
	s_wait_alu 0xfffd
	v_dual_cndmask_b32 v12, v20, v10 :: v_dual_add_nc_u32 v19, 0x800, v52
	v_sub_nc_u32_e32 v10, 0x3f1, v23
	v_cmp_gt_i32_e32 vcc_lo, 1, v17
	v_mul_f64_e32 v[2:3], s[8:9], v[2:3]
	s_delay_alu instid0(VALU_DEP_3)
	v_med3_i32 v20, v10, 0, 13
	s_wait_alu 0xfffd
	v_cndmask_b32_e32 v13, v16, v13, vcc_lo
	v_lshrrev_b32_e32 v16, 16, v11
	ds_load_2addr_b32 v[10:11], v19 offset0:100 offset1:168
	v_lshrrev_b32_e32 v19, v20, v18
	v_and_b32_e32 v21, 7, v13
	v_and_or_b32 v14, 0x8000, v16, v12
	v_lshrrev_b32_e32 v13, 2, v13
	v_add_nc_u32_e32 v16, 0xfffffc10, v23
	v_lshlrev_b32_e32 v12, v20, v19
	v_cmp_lt_i32_e32 vcc_lo, 5, v21
	v_cmp_eq_u32_e64 s0, 3, v21
	s_delay_alu instid0(VALU_DEP_3) | instskip(SKIP_1) | instid1(VALU_DEP_3)
	v_cmp_ne_u32_e64 s1, v12, v18
	v_lshl_or_b32 v18, v16, 12, v6
	s_or_b32 vcc_lo, s0, vcc_lo
	s_wait_alu 0xfffe
	v_add_co_ci_u32_e32 v13, vcc_lo, 0, v13, vcc_lo
	v_cndmask_b32_e64 v12, 0, 1, s1
	v_cmp_ne_u32_e32 vcc_lo, 0, v4
	v_and_or_b32 v8, 0x1ff, v9, v8
	v_bfe_u32 v22, v9, 20, 11
	v_lshrrev_b32_e32 v21, 8, v9
	v_or_b32_e32 v12, v19, v12
	s_wait_dscnt 0x0
	v_lshrrev_b32_e32 v19, 16, v10
	s_wait_alu 0xfffd
	v_cndmask_b32_e64 v4, 0, 1, vcc_lo
	v_cmp_gt_i32_e32 vcc_lo, 1, v16
	v_and_b32_e32 v15, 0xffff, v15
	s_delay_alu instid0(VALU_DEP_3)
	v_lshl_or_b32 v4, v4, 9, 0x7c00
	s_wait_alu 0xfffd
	v_cndmask_b32_e32 v18, v18, v12, vcc_lo
	v_mul_f16_e32 v12, v24, v19
	v_cmp_gt_i32_e32 vcc_lo, 31, v17
	v_and_or_b32 v2, 0x1ff, v3, v2
	v_lshl_or_b32 v14, v14, 16, v15
	v_and_b32_e32 v20, 7, v18
	v_fmac_f16_e32 v12, v54, v10
	s_wait_alu 0xfffd
	v_cndmask_b32_e32 v13, 0x7c00, v13, vcc_lo
	v_cmp_ne_u32_e32 vcc_lo, 0, v8
	v_lshrrev_b32_e32 v18, 2, v18
	v_cmp_eq_u32_e64 s0, 3, v20
	v_cvt_f32_f16_e32 v12, v12
	v_mul_f16_e32 v10, v24, v10
	s_wait_alu 0xfffd
	v_cndmask_b32_e64 v8, 0, 1, vcc_lo
	v_cmp_eq_u32_e32 vcc_lo, 0x40f, v17
	v_sub_nc_u32_e32 v17, 0x3f1, v22
	s_delay_alu instid0(VALU_DEP_3)
	v_and_or_b32 v8, 0xffe, v21, v8
	s_wait_alu 0xfffd
	v_cndmask_b32_e32 v4, v13, v4, vcc_lo
	v_cvt_f64_f32_e32 v[12:13], v12
	v_cmp_lt_i32_e32 vcc_lo, 5, v20
	v_med3_i32 v17, v17, 0, 13
	v_or_b32_e32 v20, 0x1000, v8
	v_and_or_b32 v23, 0x8000, v5, v4
	v_lshrrev_b32_e32 v5, 8, v3
	s_or_b32 vcc_lo, s0, vcc_lo
	s_wait_alu 0xfffe
	v_add_co_ci_u32_e32 v18, vcc_lo, 0, v18, vcc_lo
	v_cmp_gt_i32_e32 vcc_lo, 31, v16
	v_lshrrev_b32_e32 v21, v17, v20
	s_wait_alu 0xfffd
	s_delay_alu instid0(VALU_DEP_3) | instskip(SKIP_1) | instid1(VALU_DEP_3)
	v_cndmask_b32_e32 v18, 0x7c00, v18, vcc_lo
	v_cmp_ne_u32_e32 vcc_lo, 0, v2
	v_lshlrev_b32_e32 v4, v17, v21
	v_bfe_u32 v17, v3, 20, 11
	s_wait_alu 0xfffd
	v_cndmask_b32_e64 v2, 0, 1, vcc_lo
	v_cmp_ne_u32_e32 vcc_lo, 0, v6
	s_delay_alu instid0(VALU_DEP_2)
	v_and_or_b32 v2, 0xffe, v5, v2
	s_wait_alu 0xfffd
	v_cndmask_b32_e64 v6, 0, 1, vcc_lo
	v_fma_f16 v5, v54, v19, -v10
	v_cmp_ne_u32_e32 vcc_lo, v4, v20
	v_sub_nc_u32_e32 v10, 0x3f1, v17
	v_or_b32_e32 v20, 0x1000, v2
	v_add_nc_u32_e32 v19, 0xfffffc10, v22
	v_cvt_f32_f16_e32 v5, v5
	s_wait_alu 0xfffd
	v_cndmask_b32_e64 v4, 0, 1, vcc_lo
	v_med3_i32 v10, v10, 0, 13
	v_lshl_or_b32 v6, v6, 9, 0x7c00
	v_cmp_eq_u32_e32 vcc_lo, 0x40f, v16
	v_mul_f64_e32 v[12:13], s[8:9], v[12:13]
	v_or_b32_e32 v21, v21, v4
	v_cvt_f64_f32_e32 v[4:5], v5
	v_lshrrev_b32_e32 v24, v10, v20
	v_lshl_or_b32 v22, v19, 12, v8
	s_wait_alu 0xfffd
	v_cndmask_b32_e32 v6, v18, v6, vcc_lo
	v_cmp_gt_i32_e32 vcc_lo, 1, v19
	v_add_nc_u32_e32 v17, 0xfffffc10, v17
	v_lshlrev_b32_e32 v10, v10, v24
	s_delay_alu instid0(VALU_DEP_4) | instskip(SKIP_2) | instid1(VALU_DEP_3)
	v_and_or_b32 v6, 0x8000, v7, v6
	s_wait_alu 0xfffd
	v_dual_cndmask_b32 v16, v22, v21 :: v_dual_and_b32 v7, 0xffff, v23
	v_cmp_ne_u32_e32 vcc_lo, v10, v20
	v_cmp_gt_i32_e64 s1, 1, v17
	s_delay_alu instid0(VALU_DEP_3) | instskip(NEXT) | instid1(VALU_DEP_4)
	v_and_b32_e32 v15, 7, v16
	v_lshl_or_b32 v18, v6, 16, v7
	s_wait_alu 0xfffd
	v_cndmask_b32_e64 v10, 0, 1, vcc_lo
	v_add_co_u32 v0, vcc_lo, v0, s2
	s_wait_alu 0xfffd
	v_add_co_ci_u32_e32 v1, vcc_lo, s3, v1, vcc_lo
	s_delay_alu instid0(VALU_DEP_3)
	v_or_b32_e32 v6, v24, v10
	v_lshl_or_b32 v7, v17, 12, v2
	v_lshrrev_b32_e32 v10, 16, v11
	v_lshrrev_b32_e32 v24, 16, v51
	v_cmp_lt_i32_e32 vcc_lo, 5, v15
	v_cmp_eq_u32_e64 s0, 3, v15
	v_lshrrev_b32_e32 v15, 2, v16
	s_wait_alu 0xf1ff
	v_cndmask_b32_e64 v16, v7, v6, s1
	v_mul_f16_e32 v6, v24, v10
	s_or_b32 vcc_lo, s0, vcc_lo
	s_wait_alu 0xfffe
	v_add_co_ci_u32_e32 v7, vcc_lo, 0, v15, vcc_lo
	v_cmp_ne_u32_e32 vcc_lo, 0, v8
	v_and_or_b32 v12, 0x1ff, v13, v12
	v_fmac_f16_e32 v6, v51, v11
	v_mul_f64_e32 v[4:5], s[8:9], v[4:5]
	v_bfe_u32 v21, v13, 20, 11
	s_wait_alu 0xfffd
	v_cndmask_b32_e64 v8, 0, 1, vcc_lo
	v_cmp_gt_i32_e32 vcc_lo, 31, v19
	v_cmp_ne_u32_e64 s1, 0, v12
	v_cvt_f32_f16_e32 v6, v6
	v_and_b32_e32 v15, 7, v16
	v_lshl_or_b32 v8, v8, 9, 0x7c00
	s_wait_alu 0xfffd
	v_cndmask_b32_e32 v20, 0x7c00, v7, vcc_lo
	s_wait_alu 0xf1ff
	v_cndmask_b32_e64 v12, 0, 1, s1
	v_cmp_eq_u32_e64 s1, 0x40f, v19
	v_cvt_f64_f32_e32 v[6:7], v6
	v_cmp_lt_i32_e32 vcc_lo, 5, v15
	v_cmp_eq_u32_e64 s0, 3, v15
	v_lshrrev_b32_e32 v15, 8, v13
	s_wait_alu 0xf1ff
	v_cndmask_b32_e64 v19, v20, v8, s1
	v_lshrrev_b32_e32 v8, 2, v16
	v_lshrrev_b32_e32 v20, 16, v9
	s_or_b32 vcc_lo, s0, vcc_lo
	v_and_or_b32 v12, 0xffe, v15, v12
	v_sub_nc_u32_e32 v15, 0x3f1, v21
	s_wait_alu 0xfffe
	v_add_co_ci_u32_e32 v8, vcc_lo, 0, v8, vcc_lo
	v_cmp_ne_u32_e32 vcc_lo, 0, v2
	v_or_b32_e32 v16, 0x1000, v12
	v_med3_i32 v15, v15, 0, 13
	v_mul_f16_e32 v11, v24, v11
	v_and_or_b32 v19, 0x8000, v20, v19
	s_wait_alu 0xfffd
	v_cndmask_b32_e64 v2, 0, 1, vcc_lo
	v_cmp_gt_i32_e32 vcc_lo, 31, v17
	v_lshrrev_b32_e32 v23, v15, v16
	v_add_nc_u32_e32 v21, 0xfffffc10, v21
	v_lshrrev_b32_e32 v13, 16, v13
	v_lshl_or_b32 v2, v2, 9, 0x7c00
	s_wait_alu 0xfffd
	v_cndmask_b32_e32 v22, 0x7c00, v8, vcc_lo
	v_add_co_u32 v8, vcc_lo, v0, s2
	s_wait_alu 0xfffd
	v_add_co_ci_u32_e32 v9, vcc_lo, s3, v1, vcc_lo
	v_lshlrev_b32_e32 v15, v15, v23
	v_cmp_eq_u32_e32 vcc_lo, 0x40f, v17
	v_lshrrev_b32_e32 v20, 8, v5
	v_cmp_eq_u32_e64 s1, 0x40f, v21
	s_wait_alu 0xfffd
	v_cndmask_b32_e32 v17, v22, v2, vcc_lo
	v_and_or_b32 v2, 0x1ff, v5, v4
	v_cmp_ne_u32_e32 vcc_lo, v15, v16
	v_lshrrev_b32_e32 v4, 16, v3
	v_bfe_u32 v22, v5, 20, 11
	v_lshrrev_b32_e32 v5, 16, v5
	s_wait_alu 0xfffd
	v_cndmask_b32_e64 v15, 0, 1, vcc_lo
	v_cmp_ne_u32_e32 vcc_lo, 0, v2
	v_mul_f64_e32 v[2:3], s[8:9], v[6:7]
	v_fma_f16 v6, v51, v10, -v11
	v_add_nc_u32_e32 v7, 0xa00, v52
	v_or_b32_e32 v15, v23, v15
	s_wait_alu 0xfffd
	v_cndmask_b32_e64 v16, 0, 1, vcc_lo
	v_lshl_or_b32 v23, v21, 12, v12
	v_cvt_f32_f16_e32 v10, v6
	ds_load_2addr_b32 v[6:7], v7 offset0:108 offset1:176
	v_and_or_b32 v4, 0x8000, v4, v17
	v_and_or_b32 v16, 0xffe, v20, v16
	v_sub_nc_u32_e32 v20, 0x3f1, v22
	v_cvt_f64_f32_e32 v[10:11], v10
	v_and_b32_e32 v17, 0xffff, v19
	v_cmp_gt_i32_e32 vcc_lo, 1, v21
	v_or_b32_e32 v24, 0x1000, v16
	v_med3_i32 v20, v20, 0, 13
	global_store_b32 v[0:1], v14, off
	global_store_b32 v[8:9], v18, off
	v_lshl_or_b32 v14, v4, 16, v17
	s_wait_alu 0xfffd
	v_cndmask_b32_e32 v15, v23, v15, vcc_lo
	v_add_co_u32 v0, vcc_lo, v8, s2
	v_lshrrev_b32_e32 v19, v20, v24
	s_wait_alu 0xfffd
	v_add_co_ci_u32_e32 v1, vcc_lo, s3, v9, vcc_lo
	v_and_b32_e32 v4, 7, v15
	s_delay_alu instid0(VALU_DEP_3) | instskip(SKIP_2) | instid1(VALU_DEP_3)
	v_lshlrev_b32_e32 v17, v20, v19
	s_wait_dscnt 0x0
	v_lshrrev_b32_e32 v18, 16, v6
	v_cmp_lt_i32_e32 vcc_lo, 5, v4
	s_delay_alu instid0(VALU_DEP_3) | instskip(SKIP_3) | instid1(VALU_DEP_3)
	v_cmp_ne_u32_e64 s0, v17, v24
	v_lshrrev_b32_e32 v24, 16, v49
	v_add_nc_u32_e32 v17, 0xfffffc10, v22
	s_wait_alu 0xf1ff
	v_cndmask_b32_e64 v8, 0, 1, s0
	s_delay_alu instid0(VALU_DEP_3)
	v_mul_f16_e32 v9, v24, v18
	v_cmp_eq_u32_e64 s0, 3, v4
	v_lshrrev_b32_e32 v4, 2, v15
	v_lshl_or_b32 v15, v17, 12, v16
	v_or_b32_e32 v8, v19, v8
	v_fmac_f16_e32 v9, v49, v6
	s_or_b32 vcc_lo, s0, vcc_lo
	v_and_or_b32 v2, 0x1ff, v3, v2
	s_wait_alu 0xfffe
	v_add_co_ci_u32_e32 v4, vcc_lo, 0, v4, vcc_lo
	v_cmp_gt_i32_e32 vcc_lo, 1, v17
	v_cvt_f32_f16_e32 v9, v9
	v_mul_f64_e32 v[10:11], s[8:9], v[10:11]
	v_lshrrev_b32_e32 v19, 8, v3
	v_bfe_u32 v20, v3, 20, 11
	s_wait_alu 0xfffd
	v_cndmask_b32_e32 v15, v15, v8, vcc_lo
	v_cmp_ne_u32_e32 vcc_lo, 0, v2
	v_cvt_f64_f32_e32 v[8:9], v9
	v_mul_f16_e32 v6, v24, v6
	s_delay_alu instid0(VALU_DEP_4)
	v_and_b32_e32 v22, 7, v15
	s_wait_alu 0xfffd
	v_cndmask_b32_e64 v2, 0, 1, vcc_lo
	v_cmp_ne_u32_e32 vcc_lo, 0, v12
	v_lshrrev_b32_e32 v15, 2, v15
	v_fma_f16 v6, v49, v18, -v6
	v_cmp_eq_u32_e64 s0, 3, v22
	v_and_or_b32 v2, 0xffe, v19, v2
	s_wait_alu 0xfffd
	v_cndmask_b32_e64 v12, 0, 1, vcc_lo
	v_cmp_gt_i32_e32 vcc_lo, 31, v21
	v_sub_nc_u32_e32 v19, 0x3f1, v20
	v_add_nc_u32_e32 v20, 0xfffffc10, v20
	v_or_b32_e32 v23, 0x1000, v2
	v_lshl_or_b32 v12, v12, 9, 0x7c00
	s_wait_alu 0xfffd
	v_cndmask_b32_e32 v4, 0x7c00, v4, vcc_lo
	v_cmp_lt_i32_e32 vcc_lo, 5, v22
	v_med3_i32 v19, v19, 0, 13
	v_cvt_f32_f16_e32 v6, v6
	v_lshrrev_b32_e32 v22, 16, v47
	v_cndmask_b32_e64 v4, v4, v12, s1
	s_or_b32 vcc_lo, s0, vcc_lo
	v_lshrrev_b32_e32 v12, v19, v23
	s_wait_alu 0xfffe
	v_add_co_ci_u32_e32 v15, vcc_lo, 0, v15, vcc_lo
	v_cmp_ne_u32_e32 vcc_lo, 0, v16
	v_and_or_b32 v13, 0x8000, v13, v4
	v_lshlrev_b32_e32 v19, v19, v12
	s_wait_alu 0xfffd
	v_cndmask_b32_e64 v16, 0, 1, vcc_lo
	v_cmp_gt_i32_e32 vcc_lo, 31, v17
	v_and_or_b32 v10, 0x1ff, v11, v10
	v_and_b32_e32 v13, 0xffff, v13
	s_delay_alu instid0(VALU_DEP_4)
	v_lshl_or_b32 v16, v16, 9, 0x7c00
	s_wait_alu 0xfffd
	v_cndmask_b32_e32 v15, 0x7c00, v15, vcc_lo
	v_cmp_ne_u32_e32 vcc_lo, v19, v23
	v_mul_f64_e32 v[8:9], s[8:9], v[8:9]
	s_wait_alu 0xfffd
	v_cndmask_b32_e64 v19, 0, 1, vcc_lo
	v_cmp_eq_u32_e32 vcc_lo, 0x40f, v17
	s_delay_alu instid0(VALU_DEP_2)
	v_or_b32_e32 v12, v12, v19
	s_wait_alu 0xfffd
	v_cndmask_b32_e32 v4, v15, v16, vcc_lo
	v_lshl_or_b32 v15, v20, 12, v2
	v_cmp_gt_i32_e32 vcc_lo, 1, v20
	v_bfe_u32 v16, v11, 20, 11
	s_delay_alu instid0(VALU_DEP_4)
	v_and_or_b32 v17, 0x8000, v5, v4
	v_cvt_f64_f32_e32 v[4:5], v6
	s_wait_alu 0xfffd
	v_cndmask_b32_e32 v12, v15, v12, vcc_lo
	v_cmp_ne_u32_e32 vcc_lo, 0, v10
	v_lshrrev_b32_e32 v15, 8, v11
	v_sub_nc_u32_e32 v6, 0x3f1, v16
	v_lshl_or_b32 v17, v17, 16, v13
	v_and_b32_e32 v18, 7, v12
	s_wait_alu 0xfffd
	v_cndmask_b32_e64 v10, 0, 1, vcc_lo
	v_lshrrev_b32_e32 v12, 2, v12
	v_med3_i32 v6, v6, 0, 13
	v_add_nc_u32_e32 v16, 0xfffffc10, v16
	v_cmp_lt_i32_e32 vcc_lo, 5, v18
	v_and_or_b32 v10, 0xffe, v15, v10
	v_lshrrev_b32_e32 v15, 16, v7
	v_cmp_eq_u32_e64 s0, 3, v18
	v_lshrrev_b32_e32 v11, 16, v11
	s_delay_alu instid0(VALU_DEP_4) | instskip(NEXT) | instid1(VALU_DEP_4)
	v_or_b32_e32 v19, 0x1000, v10
	v_mul_f16_e32 v21, v22, v15
	s_delay_alu instid0(VALU_DEP_4)
	s_or_b32 vcc_lo, s0, vcc_lo
	s_wait_alu 0xfffe
	v_add_co_ci_u32_e32 v12, vcc_lo, 0, v12, vcc_lo
	v_lshrrev_b32_e32 v18, v6, v19
	v_fmac_f16_e32 v21, v47, v7
	v_cmp_ne_u32_e32 vcc_lo, 0, v2
	v_and_or_b32 v8, 0x1ff, v9, v8
	v_mul_f16_e32 v7, v22, v7
	v_lshlrev_b32_e32 v6, v6, v18
	v_cvt_f32_f16_e32 v13, v21
	s_wait_alu 0xfffd
	v_cndmask_b32_e64 v2, 0, 1, vcc_lo
	v_cmp_gt_i32_e32 vcc_lo, 31, v20
	v_fma_f16 v7, v47, v15, -v7
	v_lshl_or_b32 v15, v16, 12, v10
	s_delay_alu instid0(VALU_DEP_4)
	v_lshl_or_b32 v2, v2, 9, 0x7c00
	s_wait_alu 0xfffd
	v_cndmask_b32_e32 v21, 0x7c00, v12, vcc_lo
	v_cvt_f64_f32_e32 v[12:13], v13
	v_cmp_ne_u32_e32 vcc_lo, v6, v19
	v_lshrrev_b32_e32 v19, 8, v9
	v_mul_f64_e32 v[4:5], s[8:9], v[4:5]
	v_cvt_f32_f16_e32 v7, v7
	s_wait_alu 0xfffd
	v_cndmask_b32_e64 v6, 0, 1, vcc_lo
	v_cmp_ne_u32_e32 vcc_lo, 0, v8
	s_delay_alu instid0(VALU_DEP_2)
	v_or_b32_e32 v6, v18, v6
	s_wait_alu 0xfffd
	v_cndmask_b32_e64 v8, 0, 1, vcc_lo
	v_bfe_u32 v18, v9, 20, 11
	v_cmp_gt_i32_e32 vcc_lo, 1, v16
	v_lshrrev_b32_e32 v9, 16, v9
	s_delay_alu instid0(VALU_DEP_4) | instskip(NEXT) | instid1(VALU_DEP_4)
	v_and_or_b32 v8, 0xffe, v19, v8
	v_sub_nc_u32_e32 v19, 0x3f1, v18
	s_wait_alu 0xfffd
	v_cndmask_b32_e32 v15, v15, v6, vcc_lo
	v_cmp_eq_u32_e32 vcc_lo, 0x40f, v20
	v_cvt_f64_f32_e32 v[6:7], v7
	v_or_b32_e32 v22, 0x1000, v8
	v_med3_i32 v19, v19, 0, 13
	s_wait_alu 0xfffd
	v_dual_cndmask_b32 v20, v21, v2 :: v_dual_and_b32 v23, 7, v15
	v_add_co_u32 v2, vcc_lo, v0, s2
	s_delay_alu instid0(VALU_DEP_3)
	v_lshrrev_b32_e32 v24, v19, v22
	v_lshrrev_b32_e32 v21, 16, v3
	s_wait_alu 0xfffd
	v_add_co_ci_u32_e32 v3, vcc_lo, s3, v1, vcc_lo
	v_cmp_lt_i32_e32 vcc_lo, 5, v23
	v_cmp_eq_u32_e64 s0, 3, v23
	v_lshrrev_b32_e32 v15, 2, v15
	v_lshlrev_b32_e32 v19, v19, v24
	v_add_nc_u32_e32 v18, 0xfffffc10, v18
	v_and_or_b32 v20, 0x8000, v21, v20
	s_or_b32 vcc_lo, s0, vcc_lo
	v_mul_f64_e32 v[12:13], s[8:9], v[12:13]
	s_wait_alu 0xfffe
	v_add_co_ci_u32_e32 v15, vcc_lo, 0, v15, vcc_lo
	v_cmp_ne_u32_e64 s1, v19, v22
	v_cmp_ne_u32_e32 vcc_lo, 0, v10
	v_lshl_or_b32 v21, v18, 12, v8
	v_and_or_b32 v4, 0x1ff, v5, v4
	s_wait_alu 0xf1ff
	v_cndmask_b32_e64 v19, 0, 1, s1
	s_wait_alu 0xfffd
	v_cndmask_b32_e64 v10, 0, 1, vcc_lo
	v_cmp_gt_i32_e32 vcc_lo, 31, v16
	s_delay_alu instid0(VALU_DEP_3) | instskip(NEXT) | instid1(VALU_DEP_3)
	v_or_b32_e32 v19, v24, v19
	v_lshl_or_b32 v10, v10, 9, 0x7c00
	s_wait_alu 0xfffd
	v_cndmask_b32_e32 v15, 0x7c00, v15, vcc_lo
	v_cmp_gt_i32_e32 vcc_lo, 1, v18
	v_mul_f64_e32 v[6:7], s[8:9], v[6:7]
	s_wait_alu 0xfffd
	v_cndmask_b32_e32 v19, v21, v19, vcc_lo
	v_cmp_eq_u32_e32 vcc_lo, 0x40f, v16
	v_lshrrev_b32_e32 v16, 8, v5
	v_bfe_u32 v21, v5, 20, 11
	v_lshrrev_b32_e32 v5, 16, v5
	s_wait_alu 0xfffd
	v_cndmask_b32_e32 v10, v15, v10, vcc_lo
	v_cmp_ne_u32_e32 vcc_lo, 0, v4
	v_and_b32_e32 v15, 7, v19
	s_delay_alu instid0(VALU_DEP_3)
	v_and_or_b32 v10, 0x8000, v11, v10
	v_and_b32_e32 v11, 0xffff, v20
	s_wait_alu 0xfffd
	v_cndmask_b32_e64 v4, 0, 1, vcc_lo
	v_cmp_lt_i32_e32 vcc_lo, 5, v15
	v_cmp_eq_u32_e64 s0, 3, v15
	v_lshl_or_b32 v10, v10, 16, v11
	v_lshrrev_b32_e32 v11, 2, v19
	v_and_or_b32 v4, 0xffe, v16, v4
	v_sub_nc_u32_e32 v16, 0x3f1, v21
	s_or_b32 vcc_lo, s0, vcc_lo
	v_and_or_b32 v12, 0x1ff, v13, v12
	s_wait_alu 0xfffe
	v_add_co_ci_u32_e32 v11, vcc_lo, 0, v11, vcc_lo
	v_or_b32_e32 v15, 0x1000, v4
	v_med3_i32 v16, v16, 0, 13
	v_cmp_ne_u32_e32 vcc_lo, 0, v8
	v_lshrrev_b32_e32 v20, 8, v13
	v_bfe_u32 v22, v13, 20, 11
	s_delay_alu instid0(VALU_DEP_4) | instskip(SKIP_3) | instid1(VALU_DEP_3)
	v_lshrrev_b32_e32 v19, v16, v15
	s_wait_alu 0xfffd
	v_cndmask_b32_e64 v8, 0, 1, vcc_lo
	v_cmp_gt_i32_e32 vcc_lo, 31, v18
	v_lshlrev_b32_e32 v16, v16, v19
	s_delay_alu instid0(VALU_DEP_3)
	v_lshl_or_b32 v8, v8, 9, 0x7c00
	s_wait_alu 0xfffd
	v_cndmask_b32_e32 v11, 0x7c00, v11, vcc_lo
	v_cmp_ne_u32_e32 vcc_lo, 0, v12
	v_and_or_b32 v6, 0x1ff, v7, v6
	s_wait_alu 0xfffd
	v_cndmask_b32_e64 v12, 0, 1, vcc_lo
	v_cmp_ne_u32_e32 vcc_lo, v16, v15
	v_add_nc_u32_e32 v16, 0xfffffc10, v21
	v_bfe_u32 v21, v7, 20, 11
	s_delay_alu instid0(VALU_DEP_4)
	v_and_or_b32 v12, 0xffe, v20, v12
	s_wait_alu 0xfffd
	v_cndmask_b32_e64 v15, 0, 1, vcc_lo
	v_sub_nc_u32_e32 v20, 0x3f1, v22
	v_cmp_eq_u32_e32 vcc_lo, 0x40f, v18
	v_or_b32_e32 v18, 0x1000, v12
	s_wait_alu 0xfffd
	v_cndmask_b32_e32 v8, v11, v8, vcc_lo
	v_or_b32_e32 v11, v19, v15
	v_lshl_or_b32 v15, v16, 12, v4
	v_med3_i32 v19, v20, 0, 13
	v_cmp_gt_i32_e32 vcc_lo, 1, v16
	v_lshrrev_b32_e32 v20, 8, v7
	v_and_or_b32 v8, 0x8000, v9, v8
	v_sub_nc_u32_e32 v9, 0x3f1, v21
	v_lshrrev_b32_e32 v7, 16, v7
	s_wait_alu 0xfffd
	v_cndmask_b32_e32 v11, v15, v11, vcc_lo
	v_lshrrev_b32_e32 v15, v19, v18
	v_cmp_ne_u32_e32 vcc_lo, 0, v6
	v_med3_i32 v9, v9, 0, 13
	v_and_b32_e32 v8, 0xffff, v8
	v_and_b32_e32 v23, 7, v11
	v_lshlrev_b32_e32 v19, v19, v15
	s_wait_alu 0xfffd
	v_cndmask_b32_e64 v6, 0, 1, vcc_lo
	v_lshrrev_b32_e32 v11, 2, v11
	v_cmp_lt_i32_e32 vcc_lo, 5, v23
	v_cmp_ne_u32_e64 s0, v19, v18
	s_delay_alu instid0(VALU_DEP_4) | instskip(SKIP_2) | instid1(VALU_DEP_3)
	v_and_or_b32 v6, 0xffe, v20, v6
	v_add_nc_u32_e32 v20, 0xfffffc10, v22
	s_wait_alu 0xf1ff
	v_cndmask_b32_e64 v18, 0, 1, s0
	v_cmp_eq_u32_e64 s0, 3, v23
	v_or_b32_e32 v19, 0x1000, v6
	v_lshl_or_b32 v22, v20, 12, v12
	s_delay_alu instid0(VALU_DEP_4) | instskip(NEXT) | instid1(VALU_DEP_4)
	v_or_b32_e32 v15, v15, v18
	s_or_b32 vcc_lo, s0, vcc_lo
	s_delay_alu instid0(VALU_DEP_3) | instskip(SKIP_3) | instid1(VALU_DEP_3)
	v_lshrrev_b32_e32 v18, v9, v19
	s_wait_alu 0xfffe
	v_add_co_ci_u32_e32 v11, vcc_lo, 0, v11, vcc_lo
	v_cmp_gt_i32_e32 vcc_lo, 1, v20
	v_lshlrev_b32_e32 v9, v9, v18
	s_wait_alu 0xfffd
	v_cndmask_b32_e32 v15, v22, v15, vcc_lo
	v_cmp_ne_u32_e32 vcc_lo, 0, v4
	s_wait_alu 0xfffd
	v_cndmask_b32_e64 v4, 0, 1, vcc_lo
	v_cmp_ne_u32_e32 vcc_lo, v9, v19
	v_add_nc_u32_e32 v19, 0xfffffc10, v21
	v_and_b32_e32 v21, 7, v15
	s_delay_alu instid0(VALU_DEP_4)
	v_lshl_or_b32 v4, v4, 9, 0x7c00
	s_wait_alu 0xfffd
	v_cndmask_b32_e64 v9, 0, 1, vcc_lo
	v_cmp_gt_i32_e32 vcc_lo, 31, v16
	v_cmp_gt_i32_e64 s1, 1, v19
	v_cmp_eq_u32_e64 s0, 3, v21
	s_delay_alu instid0(VALU_DEP_4)
	v_or_b32_e32 v9, v18, v9
	v_lshl_or_b32 v18, v19, 12, v6
	s_wait_alu 0xfffd
	v_cndmask_b32_e32 v11, 0x7c00, v11, vcc_lo
	v_cmp_lt_i32_e32 vcc_lo, 5, v21
	s_wait_alu 0xf1ff
	v_cndmask_b32_e64 v9, v18, v9, s1
	v_cmp_eq_u32_e64 s1, 0x40f, v16
	s_or_b32 vcc_lo, s0, vcc_lo
	s_delay_alu instid0(VALU_DEP_1)
	v_cndmask_b32_e64 v4, v11, v4, s1
	v_lshrrev_b32_e32 v11, 2, v15
	v_and_b32_e32 v15, 7, v9
	v_lshrrev_b32_e32 v9, 2, v9
	v_cmp_gt_i32_e64 s1, 31, v20
	s_wait_alu 0xfffe
	v_add_co_ci_u32_e32 v11, vcc_lo, 0, v11, vcc_lo
	v_cmp_ne_u32_e32 vcc_lo, 0, v12
	v_cmp_eq_u32_e64 s0, 3, v15
	s_wait_alu 0xf1ff
	s_delay_alu instid0(VALU_DEP_3) | instskip(SKIP_3) | instid1(VALU_DEP_2)
	v_cndmask_b32_e64 v11, 0x7c00, v11, s1
	s_wait_alu 0xfffd
	v_cndmask_b32_e64 v12, 0, 1, vcc_lo
	v_cmp_lt_i32_e32 vcc_lo, 5, v15
	v_lshl_or_b32 v12, v12, 9, 0x7c00
	s_or_b32 vcc_lo, s0, vcc_lo
	s_wait_alu 0xfffe
	v_add_co_ci_u32_e32 v9, vcc_lo, 0, v9, vcc_lo
	v_cmp_ne_u32_e32 vcc_lo, 0, v6
	s_wait_alu 0xfffd
	v_cndmask_b32_e64 v6, 0, 1, vcc_lo
	v_cmp_eq_u32_e32 vcc_lo, 0x40f, v20
	s_delay_alu instid0(VALU_DEP_2)
	v_lshl_or_b32 v6, v6, 9, 0x7c00
	s_wait_alu 0xfffd
	v_cndmask_b32_e32 v11, v11, v12, vcc_lo
	v_cmp_gt_i32_e32 vcc_lo, 31, v19
	v_lshrrev_b32_e32 v12, 16, v13
	v_and_or_b32 v13, 0x8000, v5, v4
	s_wait_alu 0xfffd
	v_cndmask_b32_e32 v9, 0x7c00, v9, vcc_lo
	v_cmp_eq_u32_e32 vcc_lo, 0x40f, v19
	v_and_or_b32 v11, 0x8000, v12, v11
	v_lshl_or_b32 v12, v13, 16, v8
	s_wait_alu 0xfffd
	v_cndmask_b32_e32 v6, v9, v6, vcc_lo
	v_add_co_u32 v4, vcc_lo, v2, s2
	s_wait_alu 0xfffd
	v_add_co_ci_u32_e32 v5, vcc_lo, s3, v3, vcc_lo
	s_delay_alu instid0(VALU_DEP_3) | instskip(SKIP_4) | instid1(VALU_DEP_3)
	v_and_or_b32 v8, 0x8000, v7, v6
	v_and_b32_e32 v9, 0xffff, v11
	v_add_co_u32 v6, vcc_lo, v4, s2
	s_wait_alu 0xfffd
	v_add_co_ci_u32_e32 v7, vcc_lo, s3, v5, vcc_lo
	v_lshl_or_b32 v11, v8, 16, v9
	s_delay_alu instid0(VALU_DEP_3) | instskip(SKIP_1) | instid1(VALU_DEP_3)
	v_add_co_u32 v8, vcc_lo, v6, s2
	s_wait_alu 0xfffd
	v_add_co_ci_u32_e32 v9, vcc_lo, s3, v7, vcc_lo
	global_store_b32 v[0:1], v14, off
	global_store_b32 v[2:3], v17, off
	;; [unrolled: 1-line block ×5, first 2 shown]
.LBB0_18:
	s_nop 0
	s_sendmsg sendmsg(MSG_DEALLOC_VGPRS)
	s_endpgm
	.section	.rodata,"a",@progbits
	.p2align	6, 0x0
	.amdhsa_kernel bluestein_single_back_len884_dim1_half_op_CI_CI
		.amdhsa_group_segment_fixed_size 10608
		.amdhsa_private_segment_fixed_size 20
		.amdhsa_kernarg_size 104
		.amdhsa_user_sgpr_count 2
		.amdhsa_user_sgpr_dispatch_ptr 0
		.amdhsa_user_sgpr_queue_ptr 0
		.amdhsa_user_sgpr_kernarg_segment_ptr 1
		.amdhsa_user_sgpr_dispatch_id 0
		.amdhsa_user_sgpr_private_segment_size 0
		.amdhsa_wavefront_size32 1
		.amdhsa_uses_dynamic_stack 0
		.amdhsa_enable_private_segment 1
		.amdhsa_system_sgpr_workgroup_id_x 1
		.amdhsa_system_sgpr_workgroup_id_y 0
		.amdhsa_system_sgpr_workgroup_id_z 0
		.amdhsa_system_sgpr_workgroup_info 0
		.amdhsa_system_vgpr_workitem_id 0
		.amdhsa_next_free_vgpr 256
		.amdhsa_next_free_sgpr 20
		.amdhsa_reserve_vcc 1
		.amdhsa_float_round_mode_32 0
		.amdhsa_float_round_mode_16_64 0
		.amdhsa_float_denorm_mode_32 3
		.amdhsa_float_denorm_mode_16_64 3
		.amdhsa_fp16_overflow 0
		.amdhsa_workgroup_processor_mode 1
		.amdhsa_memory_ordered 1
		.amdhsa_forward_progress 0
		.amdhsa_round_robin_scheduling 0
		.amdhsa_exception_fp_ieee_invalid_op 0
		.amdhsa_exception_fp_denorm_src 0
		.amdhsa_exception_fp_ieee_div_zero 0
		.amdhsa_exception_fp_ieee_overflow 0
		.amdhsa_exception_fp_ieee_underflow 0
		.amdhsa_exception_fp_ieee_inexact 0
		.amdhsa_exception_int_div_zero 0
	.end_amdhsa_kernel
	.text
.Lfunc_end0:
	.size	bluestein_single_back_len884_dim1_half_op_CI_CI, .Lfunc_end0-bluestein_single_back_len884_dim1_half_op_CI_CI
                                        ; -- End function
	.section	.AMDGPU.csdata,"",@progbits
; Kernel info:
; codeLenInByte = 35636
; NumSgprs: 22
; NumVgprs: 256
; ScratchSize: 20
; MemoryBound: 0
; FloatMode: 240
; IeeeMode: 1
; LDSByteSize: 10608 bytes/workgroup (compile time only)
; SGPRBlocks: 2
; VGPRBlocks: 31
; NumSGPRsForWavesPerEU: 22
; NumVGPRsForWavesPerEU: 256
; Occupancy: 5
; WaveLimiterHint : 1
; COMPUTE_PGM_RSRC2:SCRATCH_EN: 1
; COMPUTE_PGM_RSRC2:USER_SGPR: 2
; COMPUTE_PGM_RSRC2:TRAP_HANDLER: 0
; COMPUTE_PGM_RSRC2:TGID_X_EN: 1
; COMPUTE_PGM_RSRC2:TGID_Y_EN: 0
; COMPUTE_PGM_RSRC2:TGID_Z_EN: 0
; COMPUTE_PGM_RSRC2:TIDIG_COMP_CNT: 0
	.text
	.p2alignl 7, 3214868480
	.fill 96, 4, 3214868480
	.type	__hip_cuid_985e13b297d5adb4,@object ; @__hip_cuid_985e13b297d5adb4
	.section	.bss,"aw",@nobits
	.globl	__hip_cuid_985e13b297d5adb4
__hip_cuid_985e13b297d5adb4:
	.byte	0                               ; 0x0
	.size	__hip_cuid_985e13b297d5adb4, 1

	.ident	"AMD clang version 19.0.0git (https://github.com/RadeonOpenCompute/llvm-project roc-6.4.0 25133 c7fe45cf4b819c5991fe208aaa96edf142730f1d)"
	.section	".note.GNU-stack","",@progbits
	.addrsig
	.addrsig_sym __hip_cuid_985e13b297d5adb4
	.amdgpu_metadata
---
amdhsa.kernels:
  - .args:
      - .actual_access:  read_only
        .address_space:  global
        .offset:         0
        .size:           8
        .value_kind:     global_buffer
      - .actual_access:  read_only
        .address_space:  global
        .offset:         8
        .size:           8
        .value_kind:     global_buffer
      - .actual_access:  read_only
        .address_space:  global
        .offset:         16
        .size:           8
        .value_kind:     global_buffer
      - .actual_access:  read_only
        .address_space:  global
        .offset:         24
        .size:           8
        .value_kind:     global_buffer
      - .actual_access:  read_only
        .address_space:  global
        .offset:         32
        .size:           8
        .value_kind:     global_buffer
      - .offset:         40
        .size:           8
        .value_kind:     by_value
      - .address_space:  global
        .offset:         48
        .size:           8
        .value_kind:     global_buffer
      - .address_space:  global
        .offset:         56
        .size:           8
        .value_kind:     global_buffer
      - .address_space:  global
        .offset:         64
        .size:           8
        .value_kind:     global_buffer
      - .address_space:  global
        .offset:         72
        .size:           8
        .value_kind:     global_buffer
      - .offset:         80
        .size:           4
        .value_kind:     by_value
      - .address_space:  global
        .offset:         88
        .size:           8
        .value_kind:     global_buffer
      - .address_space:  global
        .offset:         96
        .size:           8
        .value_kind:     global_buffer
    .group_segment_fixed_size: 10608
    .kernarg_segment_align: 8
    .kernarg_segment_size: 104
    .language:       OpenCL C
    .language_version:
      - 2
      - 0
    .max_flat_workgroup_size: 204
    .name:           bluestein_single_back_len884_dim1_half_op_CI_CI
    .private_segment_fixed_size: 20
    .sgpr_count:     22
    .sgpr_spill_count: 0
    .symbol:         bluestein_single_back_len884_dim1_half_op_CI_CI.kd
    .uniform_work_group_size: 1
    .uses_dynamic_stack: false
    .vgpr_count:     256
    .vgpr_spill_count: 4
    .wavefront_size: 32
    .workgroup_processor_mode: 1
amdhsa.target:   amdgcn-amd-amdhsa--gfx1201
amdhsa.version:
  - 1
  - 2
...

	.end_amdgpu_metadata
